;; amdgpu-corpus repo=ROCm/rocFFT kind=compiled arch=gfx1100 opt=O3
	.text
	.amdgcn_target "amdgcn-amd-amdhsa--gfx1100"
	.amdhsa_code_object_version 6
	.protected	fft_rtc_fwd_len208_factors_13_16_wgs_144_tpt_16_dp_ip_CI_sbcc_twdbase5_3step ; -- Begin function fft_rtc_fwd_len208_factors_13_16_wgs_144_tpt_16_dp_ip_CI_sbcc_twdbase5_3step
	.globl	fft_rtc_fwd_len208_factors_13_16_wgs_144_tpt_16_dp_ip_CI_sbcc_twdbase5_3step
	.p2align	8
	.type	fft_rtc_fwd_len208_factors_13_16_wgs_144_tpt_16_dp_ip_CI_sbcc_twdbase5_3step,@function
fft_rtc_fwd_len208_factors_13_16_wgs_144_tpt_16_dp_ip_CI_sbcc_twdbase5_3step: ; @fft_rtc_fwd_len208_factors_13_16_wgs_144_tpt_16_dp_ip_CI_sbcc_twdbase5_3step
; %bb.0:
	s_load_b256 s[4:11], s[0:1], 0x8
	s_mov_b32 s18, s15
	s_mov_b32 s2, exec_lo
	v_cmpx_gt_u32_e32 0x60, v0
	s_cbranch_execz .LBB0_2
; %bb.1:
	v_lshlrev_b32_e32 v5, 4, v0
	s_waitcnt lgkmcnt(0)
	global_load_b128 v[1:4], v5, s[4:5]
	v_add3_u32 v5, 0, v5, 0x7500
	s_waitcnt vmcnt(0)
	ds_store_2addr_b64 v5, v[1:2], v[3:4] offset1:1
.LBB0_2:
	s_or_b32 exec_lo, exec_lo, s2
	s_waitcnt lgkmcnt(0)
	s_load_b64 s[16:17], s[8:9], 0x8
	s_mov_b64 s[22:23], 0
	s_waitcnt lgkmcnt(0)
	s_add_u32 s2, s16, -1
	s_addc_u32 s3, s17, -1
	s_add_u32 s4, 0, 0x71c4fc00
	s_addc_u32 s5, 0, 0x7c
	s_mul_hi_u32 s13, s4, -9
	s_add_i32 s5, s5, 0x1c71c6a0
	s_sub_i32 s13, s13, s4
	s_mul_i32 s15, s5, -9
	s_mul_i32 s12, s4, -9
	s_add_i32 s13, s13, s15
	s_mul_hi_u32 s14, s4, s12
	s_mul_i32 s20, s4, s13
	s_mul_hi_u32 s15, s4, s13
	s_mul_hi_u32 s19, s5, s12
	s_mul_i32 s12, s5, s12
	s_add_u32 s14, s14, s20
	s_addc_u32 s15, 0, s15
	s_mul_hi_u32 s21, s5, s13
	s_add_u32 s12, s14, s12
	s_mul_i32 s13, s5, s13
	s_addc_u32 s12, s15, s19
	s_addc_u32 s14, s21, 0
	s_add_u32 s12, s12, s13
	s_delay_alu instid0(SALU_CYCLE_1) | instskip(SKIP_3) | instid1(VALU_DEP_1)
	v_add_co_u32 v1, s4, s4, s12
	s_addc_u32 s12, 0, s14
	s_cmp_lg_u32 s4, 0
	s_addc_u32 s4, s5, s12
	v_readfirstlane_b32 s5, v1
	s_mul_i32 s13, s2, s4
	s_mul_hi_u32 s12, s2, s4
	s_mul_hi_u32 s14, s3, s4
	s_mul_i32 s4, s3, s4
	s_mul_hi_u32 s15, s2, s5
	s_mul_hi_u32 s19, s3, s5
	s_mul_i32 s5, s3, s5
	s_add_u32 s13, s15, s13
	s_addc_u32 s12, 0, s12
	s_add_u32 s5, s13, s5
	s_addc_u32 s5, s12, s19
	s_addc_u32 s12, s14, 0
	s_add_u32 s4, s5, s4
	s_addc_u32 s5, 0, s12
	s_mul_i32 s13, s4, 9
	s_add_u32 s12, s4, 1
	v_sub_co_u32 v1, s2, s2, s13
	s_mul_hi_u32 s13, s4, 9
	s_addc_u32 s14, s5, 0
	s_mul_i32 s15, s5, 9
	s_delay_alu instid0(VALU_DEP_1)
	v_sub_co_u32 v2, s19, v1, 9
	s_add_u32 s20, s4, 2
	s_addc_u32 s21, s5, 0
	s_add_i32 s13, s13, s15
	s_cmp_lg_u32 s2, 0
	v_readfirstlane_b32 s2, v2
	s_subb_u32 s3, s3, s13
	s_cmp_lg_u32 s19, 0
	s_mov_b32 s19, 0
	s_subb_u32 s13, s3, 0
	s_cmp_gt_u32 s2, 8
	s_cselect_b32 s2, -1, 0
	s_cmp_eq_u32 s13, 0
	v_readfirstlane_b32 s13, v1
	s_cselect_b32 s2, s2, -1
	s_delay_alu instid0(SALU_CYCLE_1)
	s_cmp_lg_u32 s2, 0
	s_cselect_b32 s2, s20, s12
	s_cselect_b32 s12, s21, s14
	s_cmp_gt_u32 s13, 8
	s_cselect_b32 s13, -1, 0
	s_cmp_eq_u32 s3, 0
	s_cselect_b32 s3, s13, -1
	s_delay_alu instid0(SALU_CYCLE_1) | instskip(SKIP_4) | instid1(SALU_CYCLE_1)
	s_cmp_lg_u32 s3, 0
	s_cselect_b32 s2, s2, s4
	s_cselect_b32 s3, s12, s5
	s_add_u32 s20, s2, 1
	s_addc_u32 s21, s3, 0
	v_cmp_lt_u64_e64 s2, s[18:19], s[20:21]
	s_delay_alu instid0(VALU_DEP_1)
	s_and_b32 vcc_lo, exec_lo, s2
	s_cbranch_vccnz .LBB0_4
; %bb.3:
	v_cvt_f32_u32_e32 v1, s20
	s_sub_i32 s3, 0, s20
	s_mov_b32 s23, s19
	s_delay_alu instid0(VALU_DEP_1) | instskip(SKIP_2) | instid1(VALU_DEP_1)
	v_rcp_iflag_f32_e32 v1, v1
	s_waitcnt_depctr 0xfff
	v_mul_f32_e32 v1, 0x4f7ffffe, v1
	v_cvt_u32_f32_e32 v1, v1
	s_delay_alu instid0(VALU_DEP_1) | instskip(NEXT) | instid1(VALU_DEP_1)
	v_readfirstlane_b32 s2, v1
	s_mul_i32 s3, s3, s2
	s_delay_alu instid0(SALU_CYCLE_1) | instskip(NEXT) | instid1(SALU_CYCLE_1)
	s_mul_hi_u32 s3, s2, s3
	s_add_i32 s2, s2, s3
	s_delay_alu instid0(SALU_CYCLE_1) | instskip(NEXT) | instid1(SALU_CYCLE_1)
	s_mul_hi_u32 s2, s18, s2
	s_mul_i32 s3, s2, s20
	s_add_i32 s4, s2, 1
	s_sub_i32 s3, s18, s3
	s_delay_alu instid0(SALU_CYCLE_1)
	s_sub_i32 s5, s3, s20
	s_cmp_ge_u32 s3, s20
	s_cselect_b32 s2, s4, s2
	s_cselect_b32 s3, s5, s3
	s_add_i32 s4, s2, 1
	s_cmp_ge_u32 s3, s20
	s_cselect_b32 s22, s4, s2
.LBB0_4:
	s_load_b128 s[12:15], s[10:11], 0x0
	s_clause 0x1
	s_load_b64 s[2:3], s[0:1], 0x58
	s_load_b64 s[4:5], s[0:1], 0x0
	s_mul_i32 s0, s22, s21
	s_mul_hi_u32 s1, s22, s20
	s_mul_i32 s24, s22, s20
	s_add_i32 s1, s1, s0
	s_sub_u32 s35, s18, s24
	s_subb_u32 s0, 0, s1
	s_mul_hi_u32 s34, s35, 9
	s_mul_i32 s0, s0, 9
	v_cmp_lt_u64_e64 s25, s[6:7], 3
	s_mul_i32 s35, s35, 9
	s_add_i32 s34, s34, s0
	s_delay_alu instid0(VALU_DEP_1)
	s_and_b32 vcc_lo, exec_lo, s25
	s_waitcnt lgkmcnt(0)
	s_mul_i32 s0, s14, s34
	s_mul_hi_u32 s1, s14, s35
	s_mul_i32 s24, s15, s35
	s_add_i32 s0, s1, s0
	s_mul_i32 s33, s14, s35
	s_add_i32 s36, s0, s24
	s_cbranch_vccnz .LBB0_14
; %bb.5:
	s_add_u32 s0, s10, 16
	s_addc_u32 s1, s11, 0
	s_add_u32 s8, s8, 16
	s_addc_u32 s9, s9, 0
	s_mov_b64 s[24:25], 2
	s_mov_b32 s26, 0
.LBB0_6:                                ; =>This Inner Loop Header: Depth=1
	s_load_b64 s[28:29], s[8:9], 0x0
	s_waitcnt lgkmcnt(0)
	s_or_b64 s[30:31], s[22:23], s[28:29]
	s_delay_alu instid0(SALU_CYCLE_1) | instskip(NEXT) | instid1(SALU_CYCLE_1)
	s_mov_b32 s27, s31
                                        ; implicit-def: $sgpr30_sgpr31
	s_cmp_lg_u64 s[26:27], 0
	s_mov_b32 s27, -1
	s_cbranch_scc0 .LBB0_8
; %bb.7:                                ;   in Loop: Header=BB0_6 Depth=1
	v_cvt_f32_u32_e32 v1, s28
	v_cvt_f32_u32_e32 v2, s29
	s_sub_u32 s31, 0, s28
	s_subb_u32 s37, 0, s29
	s_delay_alu instid0(VALU_DEP_1) | instskip(NEXT) | instid1(VALU_DEP_1)
	v_fmac_f32_e32 v1, 0x4f800000, v2
	v_rcp_f32_e32 v1, v1
	s_waitcnt_depctr 0xfff
	v_mul_f32_e32 v1, 0x5f7ffffc, v1
	s_delay_alu instid0(VALU_DEP_1) | instskip(NEXT) | instid1(VALU_DEP_1)
	v_mul_f32_e32 v2, 0x2f800000, v1
	v_trunc_f32_e32 v2, v2
	s_delay_alu instid0(VALU_DEP_1) | instskip(SKIP_1) | instid1(VALU_DEP_2)
	v_fmac_f32_e32 v1, 0xcf800000, v2
	v_cvt_u32_f32_e32 v2, v2
	v_cvt_u32_f32_e32 v1, v1
	s_delay_alu instid0(VALU_DEP_2) | instskip(NEXT) | instid1(VALU_DEP_2)
	v_readfirstlane_b32 s27, v2
	v_readfirstlane_b32 s30, v1
	s_delay_alu instid0(VALU_DEP_2) | instskip(NEXT) | instid1(VALU_DEP_1)
	s_mul_i32 s38, s31, s27
	s_mul_hi_u32 s40, s31, s30
	s_mul_i32 s39, s37, s30
	s_add_i32 s38, s40, s38
	s_mul_i32 s41, s31, s30
	s_add_i32 s38, s38, s39
	s_mul_hi_u32 s40, s30, s41
	s_mul_hi_u32 s42, s27, s41
	s_mul_i32 s39, s27, s41
	s_mul_hi_u32 s41, s30, s38
	s_mul_i32 s30, s30, s38
	s_mul_hi_u32 s43, s27, s38
	s_add_u32 s30, s40, s30
	s_addc_u32 s40, 0, s41
	s_add_u32 s30, s30, s39
	s_mul_i32 s38, s27, s38
	s_addc_u32 s30, s40, s42
	s_addc_u32 s39, s43, 0
	s_add_u32 s30, s30, s38
	s_addc_u32 s38, 0, s39
	v_add_co_u32 v1, s30, v1, s30
	s_delay_alu instid0(VALU_DEP_1) | instskip(SKIP_1) | instid1(VALU_DEP_1)
	s_cmp_lg_u32 s30, 0
	s_addc_u32 s27, s27, s38
	v_readfirstlane_b32 s30, v1
	s_mul_i32 s38, s31, s27
	s_delay_alu instid0(VALU_DEP_1)
	s_mul_hi_u32 s39, s31, s30
	s_mul_i32 s37, s37, s30
	s_add_i32 s38, s39, s38
	s_mul_i32 s31, s31, s30
	s_add_i32 s38, s38, s37
	s_mul_hi_u32 s39, s27, s31
	s_mul_i32 s40, s27, s31
	s_mul_hi_u32 s31, s30, s31
	s_mul_hi_u32 s41, s30, s38
	s_mul_i32 s30, s30, s38
	s_mul_hi_u32 s37, s27, s38
	s_add_u32 s30, s31, s30
	s_addc_u32 s31, 0, s41
	s_add_u32 s30, s30, s40
	s_mul_i32 s38, s27, s38
	s_addc_u32 s30, s31, s39
	s_addc_u32 s31, s37, 0
	s_add_u32 s30, s30, s38
	s_addc_u32 s31, 0, s31
	v_add_co_u32 v1, s30, v1, s30
	s_delay_alu instid0(VALU_DEP_1) | instskip(SKIP_1) | instid1(VALU_DEP_1)
	s_cmp_lg_u32 s30, 0
	s_addc_u32 s27, s27, s31
	v_readfirstlane_b32 s30, v1
	s_mul_i32 s37, s22, s27
	s_mul_hi_u32 s31, s22, s27
	s_mul_hi_u32 s38, s23, s27
	s_mul_i32 s27, s23, s27
	s_mul_hi_u32 s39, s22, s30
	s_mul_hi_u32 s40, s23, s30
	s_mul_i32 s30, s23, s30
	s_add_u32 s37, s39, s37
	s_addc_u32 s31, 0, s31
	s_add_u32 s30, s37, s30
	s_addc_u32 s30, s31, s40
	s_addc_u32 s31, s38, 0
	s_add_u32 s30, s30, s27
	s_addc_u32 s31, 0, s31
	s_mul_hi_u32 s27, s28, s30
	s_mul_i32 s38, s28, s31
	s_mul_i32 s39, s28, s30
	s_add_i32 s27, s27, s38
	v_sub_co_u32 v1, s38, s22, s39
	s_mul_i32 s37, s29, s30
	s_delay_alu instid0(SALU_CYCLE_1) | instskip(NEXT) | instid1(VALU_DEP_1)
	s_add_i32 s27, s27, s37
	v_sub_co_u32 v2, s39, v1, s28
	s_sub_i32 s37, s23, s27
	s_cmp_lg_u32 s38, 0
	s_subb_u32 s37, s37, s29
	s_cmp_lg_u32 s39, 0
	v_readfirstlane_b32 s39, v2
	s_subb_u32 s37, s37, 0
	s_delay_alu instid0(SALU_CYCLE_1) | instskip(SKIP_1) | instid1(VALU_DEP_1)
	s_cmp_ge_u32 s37, s29
	s_cselect_b32 s40, -1, 0
	s_cmp_ge_u32 s39, s28
	s_cselect_b32 s39, -1, 0
	s_cmp_eq_u32 s37, s29
	s_cselect_b32 s37, s39, s40
	s_add_u32 s39, s30, 1
	s_addc_u32 s40, s31, 0
	s_add_u32 s41, s30, 2
	s_addc_u32 s42, s31, 0
	s_cmp_lg_u32 s37, 0
	s_cselect_b32 s37, s41, s39
	s_cselect_b32 s39, s42, s40
	s_cmp_lg_u32 s38, 0
	v_readfirstlane_b32 s38, v1
	s_subb_u32 s27, s23, s27
	s_delay_alu instid0(SALU_CYCLE_1) | instskip(SKIP_1) | instid1(VALU_DEP_1)
	s_cmp_ge_u32 s27, s29
	s_cselect_b32 s40, -1, 0
	s_cmp_ge_u32 s38, s28
	s_cselect_b32 s38, -1, 0
	s_cmp_eq_u32 s27, s29
	s_cselect_b32 s27, s38, s40
	s_delay_alu instid0(SALU_CYCLE_1)
	s_cmp_lg_u32 s27, 0
	s_mov_b32 s27, 0
	s_cselect_b32 s31, s39, s31
	s_cselect_b32 s30, s37, s30
.LBB0_8:                                ;   in Loop: Header=BB0_6 Depth=1
	s_and_not1_b32 vcc_lo, exec_lo, s27
	s_cbranch_vccnz .LBB0_10
; %bb.9:                                ;   in Loop: Header=BB0_6 Depth=1
	v_cvt_f32_u32_e32 v1, s28
	s_sub_i32 s30, 0, s28
	s_waitcnt_depctr 0xfff
	v_rcp_iflag_f32_e32 v1, v1
	s_waitcnt_depctr 0xfff
	v_mul_f32_e32 v1, 0x4f7ffffe, v1
	s_delay_alu instid0(VALU_DEP_1) | instskip(NEXT) | instid1(VALU_DEP_1)
	v_cvt_u32_f32_e32 v1, v1
	v_readfirstlane_b32 s27, v1
	s_delay_alu instid0(VALU_DEP_1) | instskip(NEXT) | instid1(SALU_CYCLE_1)
	s_mul_i32 s30, s30, s27
	s_mul_hi_u32 s30, s27, s30
	s_delay_alu instid0(SALU_CYCLE_1) | instskip(NEXT) | instid1(SALU_CYCLE_1)
	s_add_i32 s27, s27, s30
	s_mul_hi_u32 s27, s22, s27
	s_delay_alu instid0(SALU_CYCLE_1) | instskip(SKIP_2) | instid1(SALU_CYCLE_1)
	s_mul_i32 s30, s27, s28
	s_add_i32 s31, s27, 1
	s_sub_i32 s30, s22, s30
	s_sub_i32 s37, s30, s28
	s_cmp_ge_u32 s30, s28
	s_cselect_b32 s27, s31, s27
	s_cselect_b32 s30, s37, s30
	s_add_i32 s31, s27, 1
	s_cmp_ge_u32 s30, s28
	s_cselect_b32 s30, s31, s27
	s_mov_b32 s31, s26
.LBB0_10:                               ;   in Loop: Header=BB0_6 Depth=1
	s_load_b64 s[38:39], s[0:1], 0x0
	s_mul_i32 s21, s28, s21
	s_mul_hi_u32 s27, s28, s20
	s_mul_i32 s37, s29, s20
	s_mul_i32 s29, s30, s29
	s_mul_hi_u32 s40, s30, s28
	s_mul_i32 s41, s31, s28
	s_add_i32 s21, s27, s21
	s_add_i32 s27, s40, s29
	s_mul_i32 s42, s30, s28
	s_add_i32 s21, s21, s37
	s_add_i32 s27, s27, s41
	s_sub_u32 s22, s22, s42
	s_subb_u32 s23, s23, s27
	s_mul_i32 s20, s28, s20
	s_waitcnt lgkmcnt(0)
	s_mul_i32 s23, s38, s23
	s_mul_hi_u32 s27, s38, s22
	s_delay_alu instid0(SALU_CYCLE_1)
	s_add_i32 s23, s27, s23
	s_mul_i32 s27, s39, s22
	s_mul_i32 s22, s38, s22
	s_add_i32 s23, s23, s27
	s_add_u32 s33, s22, s33
	s_addc_u32 s36, s23, s36
	s_add_u32 s24, s24, 1
	s_addc_u32 s25, s25, 0
	s_add_u32 s0, s0, 8
	v_cmp_ge_u64_e64 s22, s[24:25], s[6:7]
	s_addc_u32 s1, s1, 0
	s_add_u32 s8, s8, 8
	s_addc_u32 s9, s9, 0
	s_delay_alu instid0(VALU_DEP_1)
	s_and_b32 vcc_lo, exec_lo, s22
	s_cbranch_vccnz .LBB0_12
; %bb.11:                               ;   in Loop: Header=BB0_6 Depth=1
	s_mov_b64 s[22:23], s[30:31]
	s_branch .LBB0_6
.LBB0_12:
	v_cmp_lt_u64_e64 s0, s[18:19], s[20:21]
	s_mov_b64 s[22:23], 0
	s_delay_alu instid0(VALU_DEP_1)
	s_and_b32 vcc_lo, exec_lo, s0
	s_cbranch_vccnz .LBB0_14
; %bb.13:
	v_cvt_f32_u32_e32 v1, s20
	s_sub_i32 s1, 0, s20
	s_delay_alu instid0(VALU_DEP_1) | instskip(SKIP_2) | instid1(VALU_DEP_1)
	v_rcp_iflag_f32_e32 v1, v1
	s_waitcnt_depctr 0xfff
	v_mul_f32_e32 v1, 0x4f7ffffe, v1
	v_cvt_u32_f32_e32 v1, v1
	s_delay_alu instid0(VALU_DEP_1) | instskip(NEXT) | instid1(VALU_DEP_1)
	v_readfirstlane_b32 s0, v1
	s_mul_i32 s1, s1, s0
	s_delay_alu instid0(SALU_CYCLE_1) | instskip(NEXT) | instid1(SALU_CYCLE_1)
	s_mul_hi_u32 s1, s0, s1
	s_add_i32 s0, s0, s1
	s_delay_alu instid0(SALU_CYCLE_1) | instskip(NEXT) | instid1(SALU_CYCLE_1)
	s_mul_hi_u32 s0, s18, s0
	s_mul_i32 s1, s0, s20
	s_add_i32 s8, s0, 1
	s_sub_i32 s1, s18, s1
	s_delay_alu instid0(SALU_CYCLE_1)
	s_sub_i32 s9, s1, s20
	s_cmp_ge_u32 s1, s20
	s_cselect_b32 s0, s8, s0
	s_cselect_b32 s1, s9, s1
	s_add_i32 s8, s0, 1
	s_cmp_ge_u32 s1, s20
	s_cselect_b32 s22, s8, s0
.LBB0_14:
	v_mul_hi_u32 v58, 0x1c71c71d, v0
	s_lshl_b64 s[0:1], s[6:7], 3
	s_delay_alu instid0(SALU_CYCLE_1) | instskip(SKIP_2) | instid1(VALU_DEP_1)
	s_add_u32 s0, s10, s0
	s_addc_u32 s1, s11, s1
	s_load_b64 s[0:1], s[0:1], 0x0
	v_mul_u32_u24_e32 v1, 9, v58
	v_or_b32_e32 v2, 32, v58
	s_delay_alu instid0(VALU_DEP_2)
	v_sub_nc_u32_e32 v3, v0, v1
	v_or_b32_e32 v1, 0x60, v58
	scratch_store_b32 off, v2, off offset:64 ; 4-byte Folded Spill
	v_add_nc_u32_e32 v2, 48, v58
	scratch_store_b32 off, v1, off offset:52 ; 4-byte Folded Spill
	v_add_nc_u32_e32 v1, 0x70, v58
	scratch_store_b32 off, v2, off offset:68 ; 4-byte Folded Spill
	v_or_b32_e32 v2, 64, v58
	scratch_store_b32 off, v1, off offset:48 ; 4-byte Folded Spill
	v_or_b32_e32 v1, 0x80, v58
	scratch_store_b32 off, v2, off offset:60 ; 4-byte Folded Spill
	v_add_nc_u32_e32 v2, 0x50, v58
	s_waitcnt lgkmcnt(0)
	s_mul_i32 s1, s1, s22
	scratch_store_b32 off, v1, off offset:44 ; 4-byte Folded Spill
	v_add_co_u32 v1, s6, s35, v3
	scratch_store_b32 off, v2, off offset:56 ; 4-byte Folded Spill
	v_add_co_ci_u32_e64 v2, null, s34, 0, s6
	s_mul_hi_u32 s6, s0, s22
	s_mul_i32 s0, s0, s22
	s_add_i32 s6, s6, s1
	s_delay_alu instid0(VALU_DEP_1)
	v_cmp_gt_u64_e32 vcc_lo, s[16:17], v[1:2]
	v_add_nc_u32_e32 v1, 0x90, v58
	s_add_u32 s0, s0, s33
	s_addc_u32 s1, s6, s36
	s_add_u32 s6, s35, 9
	s_addc_u32 s7, s34, 0
	scratch_store_b32 off, v1, off offset:40 ; 4-byte Folded Spill
	v_or_b32_e32 v1, 0xa0, v58
	v_cmp_le_u64_e64 s6, s[6:7], s[16:17]
	scratch_store_b32 off, v1, off offset:36 ; 4-byte Folded Spill
	v_add_nc_u32_e32 v1, 0xb0, v58
	s_or_b32 s33, s6, vcc_lo
	scratch_store_b32 off, v1, off offset:32 ; 4-byte Folded Spill
	v_or_b32_e32 v1, 0xc0, v58
	scratch_store_b32 off, v3, off          ; 4-byte Folded Spill
	v_mul_lo_u32 v3, 0xd00, v3
	s_clause 0x1
	scratch_store_b32 off, v1, off offset:28
	scratch_store_b32 off, v3, off offset:4
	s_and_saveexec_b32 s6, s33
	s_cbranch_execz .LBB0_16
; %bb.15:
	scratch_load_b32 v9, off, off           ; 4-byte Folded Reload
	v_mad_u64_u32 v[3:4], null, s12, v58, 0
	v_or_b32_e32 v16, 32, v58
	s_lshl_b64 s[8:9], s[0:1], 4
	v_or_b32_e32 v21, 64, v58
	s_add_u32 s7, s2, s8
	s_addc_u32 s8, s3, s9
	v_or_b32_e32 v29, 0x60, v58
	v_or_b32_e32 v32, 0x80, v58
	;; [unrolled: 1-line block ×4, first 2 shown]
	v_add_nc_u32_e32 v43, 0x90, v58
	v_mad_u64_u32 v[25:26], null, s12, v29, 0
	v_add_nc_u32_e32 v30, 0x70, v58
	v_mad_u64_u32 v[33:34], null, s12, v32, 0
	v_mad_u64_u32 v[37:38], null, s12, v44, 0
	;; [unrolled: 1-line block ×3, first 2 shown]
	v_add_nc_u32_e32 v45, 0xb0, v58
	v_lshlrev_b32_e32 v53, 4, v58
	s_delay_alu instid0(VALU_DEP_2) | instskip(SKIP_2) | instid1(VALU_DEP_1)
	v_mad_u64_u32 v[39:40], null, s12, v45, 0
	s_waitcnt vmcnt(0)
	v_mad_u64_u32 v[1:2], null, s14, v9, 0
	v_mad_u64_u32 v[7:8], null, s15, v9, v[2:3]
	v_add_nc_u32_e32 v15, 16, v58
	v_mad_u64_u32 v[8:9], null, s12, v16, 0
	s_delay_alu instid0(VALU_DEP_3) | instskip(NEXT) | instid1(VALU_DEP_3)
	v_dual_mov_b32 v2, v7 :: v_dual_add_nc_u32 v17, 48, v58
	v_mad_u64_u32 v[5:6], null, s12, v15, 0
	s_delay_alu instid0(VALU_DEP_2) | instskip(NEXT) | instid1(VALU_DEP_2)
	v_lshlrev_b64 v[1:2], 4, v[1:2]
	v_mad_u64_u32 v[12:13], null, s13, v58, v[4:5]
	v_mov_b32_e32 v4, v9
	v_mad_u64_u32 v[10:11], null, s12, v17, 0
	s_delay_alu instid0(VALU_DEP_4) | instskip(SKIP_1) | instid1(VALU_DEP_3)
	v_add_co_u32 v49, vcc_lo, s7, v1
	v_add_co_ci_u32_e32 v50, vcc_lo, s8, v2, vcc_lo
	v_mov_b32_e32 v7, v11
	s_delay_alu instid0(VALU_DEP_1) | instskip(SKIP_3) | instid1(VALU_DEP_4)
	v_mad_u64_u32 v[13:14], null, s13, v15, v[6:7]
	v_mad_u64_u32 v[14:15], null, s13, v16, v[4:5]
	v_mov_b32_e32 v4, v12
	v_add_nc_u32_e32 v12, 0x50, v58
	v_mov_b32_e32 v6, v13
	s_delay_alu instid0(VALU_DEP_3) | instskip(SKIP_2) | instid1(VALU_DEP_4)
	v_lshlrev_b64 v[1:2], 4, v[3:4]
	v_mov_b32_e32 v9, v14
	v_mad_u64_u32 v[3:4], null, s13, v17, v[7:8]
	v_lshlrev_b64 v[4:5], 4, v[5:6]
	v_mad_u64_u32 v[17:18], null, s12, v21, 0
	v_mad_u64_u32 v[19:20], null, s12, v12, 0
	v_add_co_u32 v1, vcc_lo, v49, v1
	v_mov_b32_e32 v11, v3
	v_lshlrev_b64 v[6:7], 4, v[8:9]
	v_add_co_ci_u32_e32 v2, vcc_lo, v50, v2, vcc_lo
	v_add_co_u32 v8, vcc_lo, v49, v4
	v_add_co_ci_u32_e32 v9, vcc_lo, v50, v5, vcc_lo
	v_lshlrev_b64 v[3:4], 4, v[10:11]
	v_add_co_u32 v10, vcc_lo, v49, v6
	v_dual_mov_b32 v5, v18 :: v_dual_mov_b32 v6, v20
	v_add_co_ci_u32_e32 v11, vcc_lo, v50, v7, vcc_lo
	s_delay_alu instid0(VALU_DEP_4) | instskip(NEXT) | instid1(VALU_DEP_3)
	v_add_co_u32 v13, vcc_lo, v49, v3
	v_mad_u64_u32 v[15:16], null, s13, v21, v[5:6]
	v_mad_u64_u32 v[20:21], null, s13, v12, v[6:7]
	v_mov_b32_e32 v21, v26
	v_mad_u64_u32 v[27:28], null, s12, v30, 0
	v_add_co_ci_u32_e32 v14, vcc_lo, v50, v4, vcc_lo
	v_mov_b32_e32 v18, v15
	v_lshlrev_b64 v[19:20], 4, v[19:20]
	s_clause 0x3
	global_load_b128 v[1:4], v[1:2], off
	global_load_b128 v[5:8], v[8:9], off
	global_load_b128 v[9:12], v[10:11], off
	global_load_b128 v[13:16], v[13:14], off
	v_mov_b32_e32 v22, v28
	s_delay_alu instid0(VALU_DEP_1) | instskip(NEXT) | instid1(VALU_DEP_1)
	v_mad_u64_u32 v[23:24], null, s13, v29, v[21:22]
	v_mad_u64_u32 v[28:29], null, s13, v30, v[22:23]
	v_mov_b32_e32 v29, v34
	v_lshlrev_b64 v[17:18], 4, v[17:18]
	v_mov_b32_e32 v26, v23
	s_delay_alu instid0(VALU_DEP_3) | instskip(NEXT) | instid1(VALU_DEP_3)
	v_mad_u64_u32 v[30:31], null, s13, v32, v[29:30]
	v_add_co_u32 v17, vcc_lo, v49, v17
	s_delay_alu instid0(VALU_DEP_3)
	v_lshlrev_b64 v[25:26], 4, v[25:26]
	v_add_co_ci_u32_e32 v18, vcc_lo, v50, v18, vcc_lo
	v_add_co_u32 v21, vcc_lo, v49, v19
	v_lshlrev_b64 v[27:28], 4, v[27:28]
	v_add_co_ci_u32_e32 v22, vcc_lo, v50, v20, vcc_lo
	v_add_co_u32 v25, vcc_lo, v49, v25
	v_add_co_ci_u32_e32 v26, vcc_lo, v50, v26, vcc_lo
	s_delay_alu instid0(VALU_DEP_4)
	v_add_co_u32 v31, vcc_lo, v49, v27
	v_mov_b32_e32 v27, v36
	v_add_co_ci_u32_e32 v32, vcc_lo, v50, v28, vcc_lo
	v_mov_b32_e32 v28, v38
	v_mov_b32_e32 v34, v30
	s_clause 0x1
	global_load_b128 v[17:20], v[17:18], off
	global_load_b128 v[21:24], v[21:22], off
	v_mad_u64_u32 v[41:42], null, s13, v43, v[27:28]
	v_mad_u64_u32 v[42:43], null, s13, v44, v[28:29]
	;; [unrolled: 1-line block ×3, first 2 shown]
	v_lshlrev_b64 v[33:34], 4, v[33:34]
	s_clause 0x1
	global_load_b128 v[25:28], v[25:26], off
	global_load_b128 v[29:32], v[31:32], off
	v_mov_b32_e32 v36, v41
	v_mov_b32_e32 v38, v42
	v_mad_u64_u32 v[41:42], null, s13, v45, v[40:41]
	v_mov_b32_e32 v40, v44
	s_delay_alu instid0(VALU_DEP_4)
	v_lshlrev_b64 v[35:36], 4, v[35:36]
	v_add_co_u32 v33, vcc_lo, v49, v33
	v_lshlrev_b64 v[37:38], 4, v[37:38]
	v_add_co_ci_u32_e32 v34, vcc_lo, v50, v34, vcc_lo
	v_mad_u64_u32 v[44:45], null, s13, v46, v[40:41]
	v_mov_b32_e32 v40, v41
	v_add_co_u32 v41, vcc_lo, v49, v35
	v_add_co_ci_u32_e32 v42, vcc_lo, v50, v36, vcc_lo
	s_delay_alu instid0(VALU_DEP_3) | instskip(SKIP_3) | instid1(VALU_DEP_4)
	v_lshlrev_b64 v[35:36], 4, v[39:40]
	v_add_co_u32 v45, vcc_lo, v49, v37
	v_add_co_ci_u32_e32 v46, vcc_lo, v50, v38, vcc_lo
	v_lshlrev_b64 v[37:38], 4, v[43:44]
	v_add_co_u32 v47, vcc_lo, v49, v35
	v_add_co_ci_u32_e32 v48, vcc_lo, v50, v36, vcc_lo
	s_delay_alu instid0(VALU_DEP_3) | instskip(NEXT) | instid1(VALU_DEP_4)
	v_add_co_u32 v49, vcc_lo, v49, v37
	v_add_co_ci_u32_e32 v50, vcc_lo, v50, v38, vcc_lo
	s_clause 0x4
	global_load_b128 v[33:36], v[33:34], off
	global_load_b128 v[37:40], v[41:42], off
	;; [unrolled: 1-line block ×5, first 2 shown]
	scratch_load_b32 v54, off, off offset:4 ; 4-byte Folded Reload
	s_waitcnt vmcnt(0)
	v_add3_u32 v53, 0, v54, v53
	ds_store_b128 v53, v[1:4]
	ds_store_b128 v53, v[5:8] offset:256
	ds_store_b128 v53, v[9:12] offset:512
	;; [unrolled: 1-line block ×12, first 2 shown]
.LBB0_16:
	s_or_b32 exec_lo, exec_lo, s6
	s_add_u32 s6, 0, 0x71c4fc00
	s_addc_u32 s7, 0, 0x7c
	s_mul_hi_u32 s9, s6, -9
	s_add_i32 s7, s7, 0x1c71c6a0
	s_sub_i32 s9, s9, s6
	s_mul_i32 s10, s7, -9
	s_mul_i32 s8, s6, -9
	s_add_i32 s9, s9, s10
	s_mul_hi_u32 s11, s7, s8
	s_mul_i32 s10, s7, s8
	s_mul_i32 s16, s6, s9
	s_mul_hi_u32 s8, s6, s8
	s_mul_hi_u32 s17, s6, s9
	s_add_u32 s8, s8, s16
	s_addc_u32 s16, 0, s17
	s_mul_hi_u32 s17, s7, s9
	s_add_u32 s8, s8, s10
	s_addc_u32 s8, s16, s11
	s_mul_i32 s9, s7, s9
	v_lshrrev_b32_e32 v1, 4, v0
	s_addc_u32 s10, s17, 0
	s_add_u32 s8, s8, s9
	v_and_b32_e32 v65, 15, v0
	v_add_co_u32 v5, s6, s6, s8
	s_addc_u32 s8, 0, s10
	s_cmp_lg_u32 s6, 0
	v_add_co_u32 v64, s6, s35, v1
	s_delay_alu instid0(VALU_DEP_1) | instskip(SKIP_1) | instid1(VALU_DEP_2)
	v_add_co_ci_u32_e64 v6, null, s34, 0, s6
	s_addc_u32 s6, s7, s8
	v_mul_hi_u32 v7, v64, v5
	v_mad_u64_u32 v[1:2], null, v64, s6, 0
	s_delay_alu instid0(VALU_DEP_3)
	v_mad_u64_u32 v[3:4], null, v6, v5, 0
	s_waitcnt lgkmcnt(0)
	s_waitcnt_vscnt null, 0x0
	s_barrier
	buffer_gl0_inv
	s_mov_b32 s16, 0x42a4c3d2
	v_add_co_u32 v5, vcc_lo, v7, v1
	v_add_co_ci_u32_e32 v7, vcc_lo, 0, v2, vcc_lo
	v_mad_u64_u32 v[1:2], null, v6, s6, 0
	s_delay_alu instid0(VALU_DEP_3) | instskip(NEXT) | instid1(VALU_DEP_3)
	v_add_co_u32 v3, vcc_lo, v5, v3
	v_add_co_ci_u32_e32 v3, vcc_lo, v7, v4, vcc_lo
	s_mov_b32 s18, 0x66966769
	s_mov_b32 s10, 0x2ef20147
	s_delay_alu instid0(VALU_DEP_3) | instskip(NEXT) | instid1(VALU_DEP_2)
	v_add_co_ci_u32_e32 v2, vcc_lo, 0, v2, vcc_lo
	v_add_co_u32 v3, vcc_lo, v3, v1
	s_mov_b32 s34, 0x24c2f84
	s_delay_alu instid0(VALU_DEP_2) | instskip(NEXT) | instid1(VALU_DEP_2)
	v_add_co_ci_u32_e32 v5, vcc_lo, 0, v2, vcc_lo
	v_mad_u64_u32 v[1:2], null, v3, 9, 0
	s_mov_b32 s36, 0x4bc48dbf
	s_mov_b32 s9, 0xbfddbe06
	;; [unrolled: 1-line block ×6, first 2 shown]
	s_delay_alu instid0(VALU_DEP_1)
	v_mad_u64_u32 v[3:4], null, v5, 9, v[2:3]
	v_sub_co_u32 v1, vcc_lo, v64, v1
	s_mov_b32 s35, 0xbfe5384d
	s_mov_b32 s37, 0xbfcea1e5
	;; [unrolled: 1-line block ×4, first 2 shown]
	s_delay_alu instid0(VALU_DEP_2) | instskip(SKIP_2) | instid1(VALU_DEP_2)
	v_sub_co_ci_u32_e32 v2, vcc_lo, v6, v3, vcc_lo
	v_sub_co_u32 v3, vcc_lo, v1, 9
	s_mov_b32 s24, 0xebaa3ed8
	v_subrev_co_ci_u32_e32 v4, vcc_lo, 0, v2, vcc_lo
	s_delay_alu instid0(VALU_DEP_2)
	v_cmp_lt_u32_e32 vcc_lo, 8, v3
	s_mov_b32 s26, 0xb2365da1
	s_mov_b32 s22, 0xd0032e0c
	;; [unrolled: 1-line block ×4, first 2 shown]
	v_cndmask_b32_e64 v5, 0, -1, vcc_lo
	v_cmp_lt_u32_e32 vcc_lo, 8, v1
	s_mov_b32 s21, 0x3fe22d96
	s_mov_b32 s25, 0x3fbedb7d
	;; [unrolled: 1-line block ×4, first 2 shown]
	v_cndmask_b32_e64 v6, 0, -1, vcc_lo
	v_cmp_eq_u32_e32 vcc_lo, 0, v4
	s_mov_b32 s29, 0xbfef11f4
	s_mov_b32 s41, 0x3fe5384d
	;; [unrolled: 1-line block ×4, first 2 shown]
	v_dual_cndmask_b32 v4, -1, v5 :: v_dual_add_nc_u32 v5, -9, v3
	v_cmp_eq_u32_e32 vcc_lo, 0, v2
	s_mov_b32 s40, s34
	s_mov_b32 s30, s18
	;; [unrolled: 1-line block ×4, first 2 shown]
	v_cndmask_b32_e32 v2, -1, v6, vcc_lo
	v_cmp_ne_u32_e32 vcc_lo, 0, v4
	s_mov_b32 s42, s10
	s_mov_b32 s45, 0x3fcea1e5
	;; [unrolled: 1-line block ×3, first 2 shown]
	v_cndmask_b32_e32 v3, v3, v5, vcc_lo
	v_cmp_ne_u32_e32 vcc_lo, 0, v2
	s_delay_alu instid0(VALU_DEP_2) | instskip(SKIP_1) | instid1(VALU_DEP_2)
	v_cndmask_b32_e32 v1, v1, v3, vcc_lo
	v_cmp_gt_u32_e32 vcc_lo, 13, v65
	v_mul_u32_u24_e32 v1, 0xd0, v1
	s_delay_alu instid0(VALU_DEP_1) | instskip(SKIP_1) | instid1(VALU_DEP_2)
	v_lshlrev_b32_e32 v0, 4, v1
	v_lshlrev_b32_e32 v1, 4, v65
	v_add_nc_u32_e32 v60, 0, v0
	s_delay_alu instid0(VALU_DEP_2) | instskip(NEXT) | instid1(VALU_DEP_2)
	v_add3_u32 v59, 0, v1, v0
	v_add_nc_u32_e32 v2, v60, v1
	scratch_store_b32 off, v2, off offset:8 ; 4-byte Folded Spill
	ds_load_b128 v[0:3], v2
	ds_load_b128 v[4:7], v59 offset:256
	ds_load_b128 v[20:23], v59 offset:512
	;; [unrolled: 1-line block ×3, first 2 shown]
	s_waitcnt lgkmcnt(2)
	v_add_f64 v[8:9], v[0:1], v[4:5]
	v_add_f64 v[10:11], v[2:3], v[6:7]
	s_waitcnt lgkmcnt(1)
	s_delay_alu instid0(VALU_DEP_2) | instskip(NEXT) | instid1(VALU_DEP_2)
	v_add_f64 v[40:41], v[8:9], v[20:21]
	v_add_f64 v[42:43], v[10:11], v[22:23]
	ds_load_b128 v[36:39], v59 offset:1024
	ds_load_b128 v[32:35], v59 offset:1280
	ds_load_b128 v[8:11], v59 offset:2048
	ds_load_b128 v[12:15], v59 offset:2816
	ds_load_b128 v[24:27], v59 offset:2560
	ds_load_b128 v[28:31], v59 offset:2304
	ds_load_b128 v[66:69], v59 offset:1536
	ds_load_b128 v[70:73], v59 offset:1792
	ds_load_b128 v[52:55], v59 offset:3072
	s_waitcnt lgkmcnt(0)
	s_waitcnt_vscnt null, 0x0
	s_barrier
	buffer_gl0_inv
	v_add_f64 v[44:45], v[34:35], -v[10:11]
	v_add_f64 v[84:85], v[38:39], -v[30:31]
	v_add_f64 v[90:91], v[36:37], v[28:29]
	v_add_f64 v[92:93], v[38:39], v[30:31]
	;; [unrolled: 1-line block ×4, first 2 shown]
	v_add_f64 v[76:77], v[22:23], -v[14:15]
	v_add_f64 v[78:79], v[20:21], -v[12:13]
	;; [unrolled: 1-line block ×6, first 2 shown]
	v_add_f64 v[50:51], v[66:67], v[70:71]
	v_add_f64 v[56:57], v[68:69], v[72:73]
	;; [unrolled: 1-line block ×6, first 2 shown]
	v_add_f64 v[42:43], v[36:37], -v[28:29]
	v_add_f64 v[40:41], v[32:33], -v[8:9]
	v_add_f64 v[16:17], v[16:17], v[24:25]
	v_add_f64 v[18:19], v[18:19], v[26:27]
	v_mul_f64 v[106:107], v[44:45], s[34:35]
	v_mul_f64 v[174:175], v[84:85], s[38:39]
	;; [unrolled: 1-line block ×18, first 2 shown]
	v_add_f64 v[36:37], v[61:62], v[36:37]
	v_add_f64 v[38:39], v[74:75], v[38:39]
	v_add_f64 v[61:62], v[6:7], -v[54:55]
	v_add_f64 v[74:75], v[4:5], -v[52:53]
	v_add_f64 v[4:5], v[4:5], v[52:53]
	v_add_f64 v[6:7], v[6:7], v[54:55]
	v_mul_f64 v[118:119], v[80:81], s[36:37]
	v_mul_f64 v[120:121], v[82:83], s[36:37]
	;; [unrolled: 1-line block ×17, first 2 shown]
	v_fma_f64 v[210:211], v[90:91], s[22:23], -v[122:123]
	v_fma_f64 v[122:123], v[90:91], s[22:23], v[122:123]
	v_mul_f64 v[110:111], v[48:49], s[36:37]
	v_fma_f64 v[196:197], v[20:21], s[20:21], v[94:95]
	v_fma_f64 v[198:199], v[22:23], s[20:21], -v[96:97]
	v_fma_f64 v[202:203], v[20:21], s[26:27], -v[114:115]
	v_fma_f64 v[204:205], v[22:23], s[26:27], v[116:117]
	v_fma_f64 v[212:213], v[20:21], s[28:29], -v[130:131]
	v_fma_f64 v[214:215], v[22:23], s[28:29], v[132:133]
	;; [unrolled: 2-line block ×5, first 2 shown]
	v_add_f64 v[32:33], v[36:37], v[32:33]
	v_add_f64 v[34:35], v[38:39], v[34:35]
	v_mul_f64 v[176:177], v[61:62], s[8:9]
	v_mul_f64 v[178:179], v[74:75], s[8:9]
	;; [unrolled: 1-line block ×12, first 2 shown]
	s_mov_b32 s9, 0x3fddbe06
	v_fma_f64 v[130:131], v[20:21], s[28:29], v[130:131]
	v_mul_f64 v[76:77], v[76:77], s[8:9]
	v_mul_f64 v[78:79], v[78:79], s[8:9]
	;; [unrolled: 1-line block ×4, first 2 shown]
	v_fma_f64 v[146:147], v[20:21], s[22:23], v[146:147]
	v_fma_f64 v[158:159], v[20:21], s[24:25], v[158:159]
	v_fma_f64 v[96:97], v[22:23], s[20:21], v[96:97]
	v_fma_f64 v[116:117], v[22:23], s[26:27], -v[116:117]
	v_fma_f64 v[132:133], v[22:23], s[28:29], -v[132:133]
	v_fma_f64 v[148:149], v[22:23], s[22:23], -v[148:149]
	v_fma_f64 v[160:161], v[22:23], s[24:25], -v[160:161]
	v_mul_f64 v[36:37], v[84:85], s[18:19]
	v_mul_f64 v[38:39], v[42:43], s[18:19]
	;; [unrolled: 1-line block ×3, first 2 shown]
	v_fma_f64 v[200:201], v[16:17], s[24:25], v[98:99]
	v_fma_f64 v[206:207], v[16:17], s[28:29], -v[118:119]
	v_fma_f64 v[208:209], v[18:19], s[28:29], v[120:121]
	v_fma_f64 v[216:217], v[16:17], s[26:27], -v[134:135]
	;; [unrolled: 2-line block ×4, first 2 shown]
	v_add_f64 v[32:33], v[32:33], v[66:67]
	v_add_f64 v[34:35], v[34:35], v[68:69]
	v_fma_f64 v[234:235], v[4:5], s[6:7], -v[176:177]
	v_fma_f64 v[236:237], v[6:7], s[6:7], v[178:179]
	v_fma_f64 v[176:177], v[4:5], s[6:7], v[176:177]
	v_fma_f64 v[178:179], v[6:7], s[6:7], -v[178:179]
	v_fma_f64 v[238:239], v[4:5], s[20:21], -v[180:181]
	v_fma_f64 v[180:181], v[4:5], s[20:21], v[180:181]
	v_fma_f64 v[240:241], v[4:5], s[24:25], -v[182:183]
	v_fma_f64 v[182:183], v[4:5], s[24:25], v[182:183]
	v_fma_f64 v[242:243], v[6:7], s[20:21], v[188:189]
	v_fma_f64 v[244:245], v[4:5], s[26:27], -v[184:185]
	v_fma_f64 v[188:189], v[6:7], s[20:21], -v[188:189]
	v_fma_f64 v[184:185], v[4:5], s[26:27], v[184:185]
	v_fma_f64 v[246:247], v[6:7], s[24:25], v[190:191]
	v_fma_f64 v[248:249], v[4:5], s[22:23], -v[186:187]
	;; [unrolled: 4-line block ×3, first 2 shown]
	v_fma_f64 v[66:67], v[18:19], s[24:25], -v[100:101]
	v_fma_f64 v[118:119], v[16:17], s[28:29], v[118:119]
	v_fma_f64 v[134:135], v[16:17], s[26:27], v[134:135]
	;; [unrolled: 1-line block ×4, first 2 shown]
	v_fma_f64 v[120:121], v[18:19], s[28:29], -v[120:121]
	v_fma_f64 v[136:137], v[18:19], s[26:27], -v[136:137]
	v_fma_f64 v[164:165], v[18:19], s[20:21], -v[164:165]
	v_fma_f64 v[68:69], v[90:91], s[26:27], v[102:103]
	v_fma_f64 v[224:225], v[90:91], s[24:25], -v[36:37]
	v_fma_f64 v[102:103], v[90:91], s[26:27], -v[102:103]
	v_fma_f64 v[36:37], v[90:91], s[24:25], v[36:37]
	v_mul_f64 v[112:113], v[46:47], s[36:37]
	v_mul_f64 v[142:143], v[48:49], s[34:35]
	;; [unrolled: 1-line block ×5, first 2 shown]
	v_add_f64 v[32:33], v[32:33], v[70:71]
	v_add_f64 v[34:35], v[34:35], v[72:73]
	v_fma_f64 v[70:71], v[6:7], s[22:23], v[194:195]
	v_fma_f64 v[72:73], v[4:5], s[28:29], -v[61:62]
	v_fma_f64 v[194:195], v[6:7], s[22:23], -v[194:195]
	v_fma_f64 v[4:5], v[4:5], s[28:29], v[61:62]
	v_fma_f64 v[61:62], v[6:7], s[28:29], v[74:75]
	v_fma_f64 v[6:7], v[6:7], s[28:29], -v[74:75]
	v_add_f64 v[234:235], v[0:1], v[234:235]
	v_add_f64 v[236:237], v[2:3], v[236:237]
	;; [unrolled: 1-line block ×18, first 2 shown]
	v_fma_f64 v[74:75], v[90:91], s[28:29], -v[166:167]
	v_fma_f64 v[166:167], v[90:91], s[28:29], v[166:167]
	v_add_f64 v[8:9], v[32:33], v[8:9]
	v_add_f64 v[10:11], v[34:35], v[10:11]
	;; [unrolled: 1-line block ×8, first 2 shown]
	v_fma_f64 v[32:33], v[90:91], s[20:21], -v[174:175]
	v_fma_f64 v[34:35], v[90:91], s[20:21], v[174:175]
	v_fma_f64 v[174:175], v[20:21], s[6:7], -v[76:77]
	v_fma_f64 v[20:21], v[20:21], s[6:7], v[76:77]
	v_fma_f64 v[76:77], v[22:23], s[6:7], v[78:79]
	v_fma_f64 v[22:23], v[22:23], s[6:7], -v[78:79]
	v_fma_f64 v[4:5], v[16:17], s[22:23], -v[170:171]
	v_fma_f64 v[6:7], v[16:17], s[22:23], v[170:171]
	v_fma_f64 v[170:171], v[18:19], s[22:23], v[172:173]
	v_fma_f64 v[172:173], v[18:19], s[22:23], -v[172:173]
	;; [unrolled: 4-line block ×3, first 2 shown]
	v_add_f64 v[176:177], v[196:197], v[176:177]
	v_add_f64 v[178:179], v[198:199], v[178:179]
	v_mul_f64 v[198:199], v[42:43], s[38:39]
	v_add_f64 v[202:203], v[202:203], v[238:239]
	v_add_f64 v[204:205], v[204:205], v[242:243]
	;; [unrolled: 1-line block ×4, first 2 shown]
	v_mul_f64 v[42:43], v[42:43], s[8:9]
	v_add_f64 v[220:221], v[220:221], v[244:245]
	v_add_f64 v[222:223], v[222:223], v[250:251]
	;; [unrolled: 1-line block ×14, first 2 shown]
	v_fma_f64 v[82:83], v[90:91], s[6:7], -v[84:85]
	v_fma_f64 v[84:85], v[90:91], s[6:7], v[84:85]
	v_mul_f64 v[238:239], v[44:45], s[10:11]
	v_mul_f64 v[242:243], v[40:41], s[10:11]
	v_add_f64 v[72:73], v[174:175], v[72:73]
	v_add_f64 v[0:1], v[20:21], v[0:1]
	;; [unrolled: 1-line block ×4, first 2 shown]
	v_mul_f64 v[44:45], v[44:45], s[8:9]
	v_mul_f64 v[40:41], v[40:41], s[8:9]
	v_fma_f64 v[244:245], v[92:93], s[26:27], -v[104:105]
	v_fma_f64 v[180:181], v[92:93], s[22:23], v[124:125]
	v_fma_f64 v[174:175], v[92:93], s[24:25], v[38:39]
	;; [unrolled: 1-line block ×4, first 2 shown]
	v_fma_f64 v[124:125], v[92:93], s[22:23], -v[124:125]
	v_fma_f64 v[38:39], v[92:93], s[24:25], -v[38:39]
	v_fma_f64 v[168:169], v[92:93], s[28:29], -v[168:169]
	v_fma_f64 v[22:23], v[92:93], s[20:21], v[198:199]
	v_fma_f64 v[198:199], v[92:93], s[20:21], -v[198:199]
	v_add_f64 v[176:177], v[200:201], v[176:177]
	v_add_f64 v[66:67], v[66:67], v[178:179]
	;; [unrolled: 1-line block ×3, first 2 shown]
	v_fma_f64 v[190:191], v[92:93], s[6:7], v[42:43]
	v_fma_f64 v[42:43], v[92:93], s[6:7], -v[42:43]
	v_add_f64 v[204:205], v[208:209], v[204:205]
	v_add_f64 v[212:213], v[216:217], v[212:213]
	;; [unrolled: 1-line block ×23, first 2 shown]
	v_mul_f64 v[90:91], v[48:49], s[10:11]
	v_mul_f64 v[196:197], v[46:47], s[10:11]
	;; [unrolled: 1-line block ×6, first 2 shown]
	v_fma_f64 v[250:251], v[86:87], s[22:23], v[106:107]
	v_fma_f64 v[248:249], v[88:89], s[22:23], -v[108:109]
	v_fma_f64 v[188:189], v[86:87], s[24:25], -v[126:127]
	v_fma_f64 v[182:183], v[88:89], s[24:25], v[128:129]
	v_fma_f64 v[184:185], v[86:87], s[20:21], -v[138:139]
	v_fma_f64 v[192:193], v[88:89], s[20:21], v[140:141]
	;; [unrolled: 2-line block ×4, first 2 shown]
	v_fma_f64 v[138:139], v[86:87], s[20:21], v[138:139]
	v_fma_f64 v[150:151], v[86:87], s[28:29], v[150:151]
	v_fma_f64 v[208:209], v[86:87], s[26:27], -v[238:239]
	v_fma_f64 v[238:239], v[86:87], s[26:27], v[238:239]
	v_fma_f64 v[128:129], v[88:89], s[24:25], -v[128:129]
	v_fma_f64 v[140:141], v[88:89], s[20:21], -v[140:141]
	;; [unrolled: 1-line block ×3, first 2 shown]
	v_fma_f64 v[96:97], v[88:89], s[26:27], v[242:243]
	v_fma_f64 v[100:101], v[88:89], s[26:27], -v[242:243]
	v_fma_f64 v[108:109], v[88:89], s[22:23], v[108:109]
	v_fma_f64 v[132:133], v[86:87], s[6:7], -v[44:45]
	v_fma_f64 v[134:135], v[88:89], s[6:7], v[40:41]
	v_fma_f64 v[44:45], v[86:87], s[6:7], v[44:45]
	v_fma_f64 v[40:41], v[88:89], s[6:7], -v[40:41]
	v_add_f64 v[68:69], v[68:69], v[176:177]
	v_add_f64 v[66:67], v[244:245], v[66:67]
	;; [unrolled: 1-line block ×26, first 2 shown]
	v_fma_f64 v[228:229], v[50:51], s[28:29], v[110:111]
	v_fma_f64 v[234:235], v[56:57], s[28:29], -v[112:113]
	v_fma_f64 v[186:187], v[50:51], s[22:23], -v[142:143]
	v_fma_f64 v[194:195], v[56:57], s[22:23], v[144:145]
	v_fma_f64 v[236:237], v[50:51], s[20:21], -v[154:155]
	v_fma_f64 v[200:201], v[56:57], s[20:21], v[156:157]
	;; [unrolled: 2-line block ×4, first 2 shown]
	v_fma_f64 v[130:131], v[50:51], s[20:21], v[154:155]
	v_fma_f64 v[90:91], v[50:51], s[26:27], v[90:91]
	v_fma_f64 v[26:27], v[50:51], s[24:25], -v[240:241]
	v_fma_f64 v[38:39], v[50:51], s[24:25], v[240:241]
	v_fma_f64 v[42:43], v[56:57], s[24:25], v[246:247]
	v_fma_f64 v[61:62], v[56:57], s[24:25], -v[246:247]
	v_fma_f64 v[72:73], v[56:57], s[26:27], -v[196:197]
	;; [unrolled: 1-line block ×4, first 2 shown]
	v_fma_f64 v[104:105], v[56:57], s[28:29], v[112:113]
	v_fma_f64 v[28:29], v[50:51], s[6:7], -v[48:49]
	v_fma_f64 v[112:113], v[56:57], s[6:7], v[46:47]
	v_fma_f64 v[48:49], v[50:51], s[6:7], v[48:49]
	v_fma_f64 v[50:51], v[56:57], s[6:7], -v[46:47]
	v_add_f64 v[46:47], v[250:251], v[68:69]
	v_add_f64 v[56:57], v[248:249], v[66:67]
	;; [unrolled: 1-line block ×52, first 2 shown]
	v_mad_u32_u24 v52, 0xd0, v65, v60
	ds_store_b128 v52, v[4:7] offset:32
	ds_store_b128 v52, v[28:31] offset:48
	ds_store_b128 v52, v[8:11] offset:64
	ds_store_b128 v52, v[20:23] offset:80
	ds_store_b128 v52, v[16:19] offset:96
	ds_store_b128 v52, v[40:43] offset:112
	ds_store_b128 v52, v[24:27] offset:128
	ds_store_b128 v52, v[44:47] offset:144
	ds_store_b128 v52, v[36:39] offset:160
	ds_store_b128 v52, v[48:51] offset:176
	ds_store_b128 v52, v[32:35] offset:192
	ds_store_b128 v52, v[0:3]
	ds_store_b128 v52, v[12:15] offset:16
	s_waitcnt lgkmcnt(0)
	s_barrier
	buffer_gl0_inv
                                        ; implicit-def: $vgpr54_vgpr55
                                        ; implicit-def: $vgpr52_vgpr53
                                        ; implicit-def: $vgpr62_vgpr63
	scratch_store_b128 off, v[50:53], off offset:12 ; 16-byte Folded Spill
	s_and_saveexec_b32 s6, vcc_lo
	s_cbranch_execz .LBB0_18
; %bb.17:
	scratch_load_b32 v0, off, off offset:8  ; 4-byte Folded Reload
	s_waitcnt vmcnt(0)
	ds_load_b128 v[0:3], v0
	ds_load_b128 v[12:15], v59 offset:208
	ds_load_b128 v[4:7], v59 offset:416
	;; [unrolled: 1-line block ×14, first 2 shown]
	s_waitcnt lgkmcnt(0)
	scratch_store_b128 off, v[60:63], off offset:12 ; 16-byte Folded Spill
	ds_load_b128 v[60:63], v59 offset:3120
.LBB0_18:
	s_or_b32 exec_lo, exec_lo, s6
	v_add_nc_u32_e32 v56, -13, v65
	v_mul_lo_u32 v57, v64, 13
	s_add_i32 s6, 0, 0x7500
	s_delay_alu instid0(VALU_DEP_2) | instskip(SKIP_2) | instid1(VALU_DEP_1)
	v_cndmask_b32_e32 v56, v56, v65, vcc_lo
	scratch_store_b32 off, v56, off offset:72 ; 4-byte Folded Spill
	v_mul_lo_u32 v56, v56, v64
	v_and_b32_e32 v64, 31, v56
	v_lshrrev_b32_e32 v65, 1, v56
	v_lshrrev_b32_e32 v66, 6, v56
	v_add_nc_u32_e32 v56, v56, v57
	s_delay_alu instid0(VALU_DEP_4) | instskip(NEXT) | instid1(VALU_DEP_4)
	v_lshl_add_u32 v64, v64, 4, 0
	v_and_b32_e32 v65, 0x1f0, v65
	s_delay_alu instid0(VALU_DEP_4) | instskip(NEXT) | instid1(VALU_DEP_4)
	v_and_b32_e32 v66, 0x1f0, v66
	v_and_b32_e32 v67, 31, v56
	v_lshrrev_b32_e32 v68, 1, v56
	v_lshrrev_b32_e32 v69, 6, v56
	v_add_nc_u32_e32 v56, v56, v57
	v_add_nc_u32_e32 v65, s6, v65
	v_lshl_add_u32 v70, v67, 4, 0
	v_and_b32_e32 v67, 0x1f0, v68
	v_and_b32_e32 v68, 0x1f0, v69
	;; [unrolled: 1-line block ×3, first 2 shown]
	v_lshrrev_b32_e32 v71, 1, v56
	v_lshrrev_b32_e32 v72, 6, v56
	v_add_nc_u32_e32 v56, v56, v57
	v_add_nc_u32_e32 v73, s6, v67
	v_lshl_add_u32 v74, v69, 4, 0
	v_and_b32_e32 v67, 0x1f0, v71
	v_and_b32_e32 v69, 0x1f0, v72
	;; [unrolled: 1-line block ×3, first 2 shown]
	v_lshrrev_b32_e32 v72, 1, v56
	v_lshrrev_b32_e32 v75, 6, v56
	v_add_nc_u32_e32 v56, v56, v57
	v_add_nc_u32_e32 v77, s6, v69
	;; [unrolled: 1-line block ×3, first 2 shown]
	v_lshl_add_u32 v78, v71, 4, 0
	v_and_b32_e32 v67, 0x1f0, v72
	v_lshrrev_b32_e32 v69, 1, v56
	v_and_b32_e32 v71, 0x1f0, v75
	v_and_b32_e32 v72, 31, v56
	v_lshrrev_b32_e32 v75, 6, v56
	v_add_nc_u32_e32 v56, v56, v57
	v_and_b32_e32 v69, 0x1f0, v69
	v_add_nc_u32_e32 v79, s6, v67
	v_add_nc_u32_e32 v80, s6, v71
	v_and_b32_e32 v67, 0x1f0, v75
	v_add_nc_u32_e32 v71, v56, v57
	v_add_nc_u32_e32 v82, s6, v69
	v_lshrrev_b32_e32 v69, 1, v56
	v_lshl_add_u32 v81, v72, 4, 0
	v_and_b32_e32 v72, 31, v56
	v_lshrrev_b32_e32 v75, 1, v71
	v_add_nc_u32_e32 v83, s6, v67
	v_and_b32_e32 v67, 0x1f0, v69
	v_lshrrev_b32_e32 v56, 6, v56
	v_lshl_add_u32 v84, v72, 4, 0
	v_and_b32_e32 v69, 0x1f0, v75
	v_and_b32_e32 v72, 31, v71
	v_add_nc_u32_e32 v85, s6, v67
	v_add_nc_u32_e32 v67, v71, v57
	v_lshrrev_b32_e32 v71, 6, v71
	v_add_nc_u32_e32 v89, s6, v69
	v_lshl_add_u32 v88, v72, 4, 0
	v_and_b32_e32 v56, 0x1f0, v56
	v_add_nc_u32_e32 v69, v67, v57
	v_and_b32_e32 v71, 0x1f0, v71
	v_lshrrev_b32_e32 v72, 1, v67
	v_and_b32_e32 v75, 31, v67
	v_lshrrev_b32_e32 v67, 6, v67
	v_lshrrev_b32_e32 v86, 1, v69
	v_add_nc_u32_e32 v90, s6, v71
	v_and_b32_e32 v71, 0x1f0, v72
	v_lshl_add_u32 v92, v75, 4, 0
	v_and_b32_e32 v67, 0x1f0, v67
	v_and_b32_e32 v72, 0x1f0, v86
	;; [unrolled: 1-line block ×3, first 2 shown]
	v_add_nc_u32_e32 v93, s6, v71
	v_add_nc_u32_e32 v71, v69, v57
	v_lshrrev_b32_e32 v69, 6, v69
	v_add_nc_u32_e32 v94, s6, v67
	v_add_nc_u32_e32 v97, s6, v72
	v_lshl_add_u32 v96, v75, 4, 0
	v_add_nc_u32_e32 v67, v71, v57
	v_and_b32_e32 v69, 0x1f0, v69
	v_lshrrev_b32_e32 v72, 1, v71
	v_and_b32_e32 v75, 31, v71
	v_lshrrev_b32_e32 v71, 6, v71
	v_lshrrev_b32_e32 v86, 1, v67
	v_add_nc_u32_e32 v98, s6, v69
	v_and_b32_e32 v69, 0x1f0, v72
	v_lshl_add_u32 v100, v75, 4, 0
	v_and_b32_e32 v71, 0x1f0, v71
	v_and_b32_e32 v72, 0x1f0, v86
	;; [unrolled: 1-line block ×3, first 2 shown]
	v_add_nc_u32_e32 v101, s6, v69
	v_add_nc_u32_e32 v69, v67, v57
	v_lshrrev_b32_e32 v67, 6, v67
	v_add_nc_u32_e32 v102, s6, v71
	v_add_nc_u32_e32 v105, s6, v72
	v_lshl_add_u32 v104, v75, 4, 0
	v_lshrrev_b32_e32 v71, 1, v69
	v_and_b32_e32 v67, 0x1f0, v67
	v_add_nc_u32_e32 v72, v69, v57
	v_and_b32_e32 v75, 31, v69
	v_lshrrev_b32_e32 v69, 6, v69
	v_and_b32_e32 v71, 0x1f0, v71
	v_add_nc_u32_e32 v106, s6, v67
	v_lshrrev_b32_e32 v67, 1, v72
	v_lshl_add_u32 v108, v75, 4, 0
	v_and_b32_e32 v69, 0x1f0, v69
	v_add_nc_u32_e32 v109, s6, v71
	v_and_b32_e32 v71, 31, v72
	v_and_b32_e32 v67, 0x1f0, v67
	v_add_nc_u32_e32 v75, v72, v57
	v_lshrrev_b32_e32 v72, 6, v72
	v_add_nc_u32_e32 v110, s6, v69
	v_lshl_add_u32 v112, v71, 4, 0
	v_add_nc_u32_e32 v113, s6, v67
	v_lshrrev_b32_e32 v67, 1, v75
	v_lshrrev_b32_e32 v69, 6, v75
	v_and_b32_e32 v71, 0x1f0, v72
	v_and_b32_e32 v72, 31, v75
	v_add_nc_u32_e32 v75, v75, v57
	v_and_b32_e32 v67, 0x1f0, v67
	v_and_b32_e32 v69, 0x1f0, v69
	v_add_nc_u32_e32 v114, s6, v71
	v_lshl_add_u32 v116, v72, 4, 0
	v_add_nc_u32_e32 v57, v75, v57
	v_and_b32_e32 v71, 31, v75
	v_lshrrev_b32_e32 v72, 1, v75
	v_lshrrev_b32_e32 v75, 6, v75
	v_add_nc_u32_e32 v117, s6, v67
	v_add_nc_u32_e32 v118, s6, v69
	v_lshl_add_u32 v120, v71, 4, 0
	v_and_b32_e32 v67, 0x1f0, v72
	v_lshrrev_b32_e32 v71, 1, v57
	v_lshrrev_b32_e32 v72, 6, v57
	v_and_b32_e32 v69, 0x1f0, v75
	v_and_b32_e32 v57, 31, v57
	v_add_nc_u32_e32 v66, s6, v66
	v_and_b32_e32 v71, 0x1f0, v71
	v_and_b32_e32 v72, 0x1f0, v72
	v_add_nc_u32_e32 v68, s6, v68
	v_add_nc_u32_e32 v121, s6, v67
	;; [unrolled: 1-line block ×6, first 2 shown]
	v_lshl_add_u32 v57, v57, 4, 0
	ds_load_b128 v[128:131], v64 offset:29952
	ds_load_b128 v[132:135], v65 offset:512
	;; [unrolled: 1-line block ×48, first 2 shown]
	s_waitcnt lgkmcnt(0)
	s_waitcnt_vscnt null, 0x0
	s_barrier
	buffer_gl0_inv
	s_and_saveexec_b32 s18, vcc_lo
	s_cbranch_execz .LBB0_20
; %bb.19:
	v_mul_f64 v[56:57], v[250:251], v[254:255]
	s_mov_b32 s10, 0x667f3bcd
	s_mov_b32 s11, 0x3fe6a09e
	;; [unrolled: 1-line block ×9, first 2 shown]
	s_delay_alu instid0(VALU_DEP_1) | instskip(SKIP_2) | instid1(VALU_DEP_1)
	v_fma_f64 v[56:57], v[248:249], v[252:253], -v[56:57]
	scratch_store_b64 off, v[56:57], off offset:76 ; 8-byte Folded Spill
	v_mul_f64 v[56:57], v[248:249], v[254:255]
	v_fma_f64 v[248:249], v[250:251], v[252:253], v[56:57]
	v_mul_f64 v[56:57], v[242:243], v[246:247]
	s_delay_alu instid0(VALU_DEP_1) | instskip(SKIP_1) | instid1(VALU_DEP_1)
	v_fma_f64 v[250:251], v[240:241], v[244:245], -v[56:57]
	v_mul_f64 v[56:57], v[240:241], v[246:247]
	v_fma_f64 v[240:241], v[242:243], v[244:245], v[56:57]
	v_mul_f64 v[56:57], v[234:235], v[238:239]
	s_delay_alu instid0(VALU_DEP_1) | instskip(SKIP_1) | instid1(VALU_DEP_1)
	v_fma_f64 v[242:243], v[232:233], v[236:237], -v[56:57]
	;; [unrolled: 5-line block ×15, first 2 shown]
	v_mul_f64 v[128:129], v[128:129], v[134:135]
	v_fma_f64 v[140:141], v[130:131], v[132:133], v[128:129]
	scratch_load_b32 v128, off, off offset:72 ; 4-byte Folded Reload
	v_mov_b32_e32 v129, 0
	s_waitcnt vmcnt(0)
	v_mul_i32_i24_e32 v128, 15, v128
	s_delay_alu instid0(VALU_DEP_1) | instskip(NEXT) | instid1(VALU_DEP_1)
	v_lshlrev_b64 v[128:129], 4, v[128:129]
	v_add_co_u32 v142, vcc_lo, s4, v128
	s_delay_alu instid0(VALU_DEP_2)
	v_add_co_ci_u32_e32 v143, vcc_lo, s5, v129, vcc_lo
	s_clause 0x1
	global_load_b128 v[128:131], v[142:143], off offset:32
	global_load_b128 v[132:135], v[142:143], off offset:48
	s_mov_b32 s4, 0xa6aea964
	s_mov_b32 s5, 0x3fd87de2
	;; [unrolled: 1-line block ×3, first 2 shown]
	s_waitcnt vmcnt(1)
	v_mul_f64 v[148:149], v[30:31], v[130:131]
	s_delay_alu instid0(VALU_DEP_1) | instskip(SKIP_1) | instid1(VALU_DEP_1)
	v_fma_f64 v[148:149], v[28:29], v[128:129], -v[148:149]
	v_mul_f64 v[28:29], v[28:29], v[130:131]
	v_fma_f64 v[150:151], v[30:31], v[128:129], v[28:29]
	s_clause 0x1
	global_load_b128 v[28:31], v[142:143], off offset:160
	global_load_b128 v[128:131], v[142:143], off offset:176
	s_waitcnt vmcnt(1)
	v_mul_f64 v[156:157], v[50:51], v[30:31]
	v_mul_f64 v[30:31], v[48:49], v[30:31]
	s_delay_alu instid0(VALU_DEP_2) | instskip(NEXT) | instid1(VALU_DEP_2)
	v_fma_f64 v[156:157], v[48:49], v[28:29], -v[156:157]
	v_fma_f64 v[158:159], v[50:51], v[28:29], v[30:31]
	s_clause 0x1
	global_load_b128 v[28:31], v[142:143], off offset:96
	global_load_b128 v[48:51], v[142:143], off offset:112
	s_waitcnt vmcnt(1)
	v_mul_f64 v[164:165], v[40:41], v[30:31]
	v_mul_f64 v[30:31], v[42:43], v[30:31]
	s_delay_alu instid0(VALU_DEP_2) | instskip(NEXT) | instid1(VALU_DEP_2)
	v_fma_f64 v[164:165], v[42:43], v[28:29], v[164:165]
	v_fma_f64 v[166:167], v[40:41], v[28:29], -v[30:31]
	global_load_b128 v[28:31], v[142:143], off offset:224
	s_waitcnt vmcnt(0)
	v_mul_f64 v[40:41], v[60:61], v[30:31]
	v_mul_f64 v[30:31], v[62:63], v[30:31]
	s_delay_alu instid0(VALU_DEP_2) | instskip(NEXT) | instid1(VALU_DEP_2)
	v_fma_f64 v[172:173], v[62:63], v[28:29], v[40:41]
	v_fma_f64 v[60:61], v[60:61], v[28:29], -v[30:31]
	s_clause 0x1
	global_load_b128 v[28:31], v[142:143], off
	global_load_b128 v[40:43], v[142:143], off offset:16
	v_add_f64 v[60:61], v[166:167], -v[60:61]
	s_waitcnt vmcnt(1)
	v_mul_f64 v[62:63], v[14:15], v[30:31]
	s_delay_alu instid0(VALU_DEP_1) | instskip(SKIP_1) | instid1(VALU_DEP_1)
	v_fma_f64 v[62:63], v[12:13], v[28:29], -v[62:63]
	v_mul_f64 v[12:13], v[12:13], v[30:31]
	v_fma_f64 v[174:175], v[14:15], v[28:29], v[12:13]
	s_clause 0x1
	global_load_b128 v[12:15], v[142:143], off offset:128
	global_load_b128 v[28:31], v[142:143], off offset:144
	s_waitcnt vmcnt(1)
	v_mul_f64 v[180:181], v[46:47], v[14:15]
	v_mul_f64 v[14:15], v[44:45], v[14:15]
	s_delay_alu instid0(VALU_DEP_2) | instskip(NEXT) | instid1(VALU_DEP_2)
	v_fma_f64 v[180:181], v[44:45], v[12:13], -v[180:181]
	v_fma_f64 v[182:183], v[46:47], v[12:13], v[14:15]
	s_clause 0x1
	global_load_b128 v[12:15], v[142:143], off offset:64
	global_load_b128 v[44:47], v[142:143], off offset:80
	s_waitcnt vmcnt(1)
	v_mul_f64 v[188:189], v[20:21], v[14:15]
	v_mul_f64 v[14:15], v[22:23], v[14:15]
	s_delay_alu instid0(VALU_DEP_2) | instskip(NEXT) | instid1(VALU_DEP_2)
	v_fma_f64 v[188:189], v[22:23], v[12:13], v[188:189]
	v_fma_f64 v[190:191], v[20:21], v[12:13], -v[14:15]
	s_clause 0x1
	global_load_b128 v[12:15], v[142:143], off offset:192
	global_load_b128 v[20:23], v[142:143], off offset:208
	s_waitcnt vmcnt(1)
	v_mul_f64 v[142:143], v[52:53], v[14:15]
	v_mul_f64 v[14:15], v[54:55], v[14:15]
	s_delay_alu instid0(VALU_DEP_2) | instskip(NEXT) | instid1(VALU_DEP_2)
	v_fma_f64 v[142:143], v[54:55], v[12:13], v[142:143]
	v_fma_f64 v[12:13], v[52:53], v[12:13], -v[14:15]
	v_mul_f64 v[14:15], v[6:7], v[42:43]
	v_mul_f64 v[54:55], v[200:201], v[102:103]
	;; [unrolled: 1-line block ×3, first 2 shown]
	s_delay_alu instid0(VALU_DEP_4) | instskip(NEXT) | instid1(VALU_DEP_4)
	v_add_f64 v[12:13], v[190:191], -v[12:13]
	v_fma_f64 v[14:15], v[4:5], v[40:41], -v[14:15]
	v_mul_f64 v[4:5], v[4:5], v[42:43]
	s_delay_alu instid0(VALU_DEP_4) | instskip(SKIP_1) | instid1(VALU_DEP_3)
	v_fma_f64 v[52:53], v[104:105], v[208:209], v[52:53]
	v_mul_f64 v[42:43], v[224:225], v[114:115]
	v_fma_f64 v[40:41], v[6:7], v[40:41], v[4:5]
	v_mul_f64 v[4:5], v[38:39], v[30:31]
	v_mul_f64 v[6:7], v[36:37], v[30:31]
	;; [unrolled: 1-line block ×3, first 2 shown]
	v_fma_f64 v[42:43], v[112:113], v[234:235], -v[42:43]
	s_delay_alu instid0(VALU_DEP_4) | instskip(NEXT) | instid1(VALU_DEP_4)
	v_fma_f64 v[4:5], v[36:37], v[28:29], -v[4:5]
	v_fma_f64 v[6:7], v[38:39], v[28:29], v[6:7]
	scratch_load_b128 v[36:39], off, off offset:12 ; 16-byte Folded Reload
	v_mul_f64 v[28:29], v[16:17], v[46:47]
	v_fma_f64 v[30:31], v[34:35], v[128:129], v[30:31]
	s_delay_alu instid0(VALU_DEP_2) | instskip(SKIP_2) | instid1(VALU_DEP_2)
	v_fma_f64 v[28:29], v[18:19], v[44:45], v[28:29]
	v_mul_f64 v[18:19], v[18:19], v[46:47]
	v_mul_f64 v[46:47], v[216:217], v[110:111]
	v_fma_f64 v[16:17], v[16:17], v[44:45], -v[18:19]
	v_mul_f64 v[44:45], v[234:235], v[114:115]
	s_delay_alu instid0(VALU_DEP_3) | instskip(SKIP_1) | instid1(VALU_DEP_3)
	v_fma_f64 v[46:47], v[108:109], v[226:227], -v[46:47]
	v_add_f64 v[114:115], v[40:41], -v[6:7]
	v_fma_f64 v[44:45], v[112:113], v[224:225], v[44:45]
	s_waitcnt vmcnt(0)
	v_mul_f64 v[18:19], v[36:37], v[22:23]
	v_mul_f64 v[22:23], v[38:39], v[22:23]
	s_delay_alu instid0(VALU_DEP_2) | instskip(NEXT) | instid1(VALU_DEP_2)
	v_fma_f64 v[18:19], v[38:39], v[20:21], v[18:19]
	v_fma_f64 v[20:21], v[36:37], v[20:21], -v[22:23]
	v_mul_f64 v[22:23], v[24:25], v[50:51]
	v_mul_f64 v[36:37], v[232:233], v[118:119]
	;; [unrolled: 1-line block ×3, first 2 shown]
	v_add_f64 v[118:119], v[174:175], -v[182:183]
	v_add_f64 v[18:19], v[28:29], -v[18:19]
	;; [unrolled: 1-line block ×3, first 2 shown]
	v_fma_f64 v[22:23], v[26:27], v[48:49], v[22:23]
	v_mul_f64 v[26:27], v[26:27], v[50:51]
	v_mul_f64 v[50:51], v[208:209], v[106:107]
	v_add_f64 v[106:107], v[164:165], -v[172:173]
	v_fma_f64 v[36:37], v[116:117], v[242:243], -v[36:37]
	v_fma_f64 v[38:39], v[116:117], v[232:233], v[38:39]
	v_fma_f64 v[16:17], v[16:17], 2.0, -v[20:21]
	v_add_f64 v[112:113], v[2:3], -v[22:23]
	v_fma_f64 v[24:25], v[24:25], v[48:49], -v[26:27]
	v_mul_f64 v[26:27], v[10:11], v[134:135]
	v_fma_f64 v[50:51], v[104:105], v[56:57], -v[50:51]
	v_fma_f64 v[56:57], v[100:101], v[210:211], -v[54:55]
	v_mul_f64 v[54:55], v[210:211], v[102:103]
	v_mul_f64 v[48:49], v[226:227], v[110:111]
	v_add_f64 v[102:103], v[188:189], -v[142:143]
	v_add_f64 v[104:105], v[148:149], -v[156:157]
	;; [unrolled: 1-line block ×4, first 2 shown]
	v_fma_f64 v[26:27], v[8:9], v[132:133], -v[26:27]
	v_mul_f64 v[8:9], v[8:9], v[134:135]
	v_fma_f64 v[54:55], v[100:101], v[200:201], v[54:55]
	v_mul_f64 v[100:101], v[192:193], v[98:99]
	v_mul_f64 v[98:99], v[202:203], v[98:99]
	v_fma_f64 v[48:49], v[108:109], v[216:217], v[48:49]
	v_add_f64 v[108:109], v[150:151], -v[158:159]
	v_add_f64 v[134:135], v[110:111], -v[18:19]
	v_fma_f64 v[14:15], v[14:15], 2.0, -v[110:111]
	v_fma_f64 v[8:9], v[10:11], v[132:133], v[8:9]
	v_mul_f64 v[10:11], v[34:35], v[130:131]
	scratch_load_b64 v[34:35], off, off offset:76 ; 8-byte Folded Reload
	v_fma_f64 v[100:101], v[96:97], v[202:203], -v[100:101]
	v_fma_f64 v[96:97], v[96:97], v[192:193], v[98:99]
	v_mul_f64 v[98:99], v[194:195], v[94:95]
	v_mul_f64 v[94:95], v[184:185], v[94:95]
	v_add_f64 v[130:131], v[118:119], v[12:13]
	v_fma_f64 v[12:13], v[190:191], 2.0, -v[12:13]
	v_add_f64 v[16:17], v[14:15], -v[16:17]
	v_add_f64 v[22:23], v[8:9], -v[30:31]
	v_fma_f64 v[10:11], v[32:33], v[128:129], -v[10:11]
	v_mul_f64 v[32:33], v[248:249], v[126:127]
	v_fma_f64 v[98:99], v[92:93], v[184:185], v[98:99]
	v_fma_f64 v[92:93], v[92:93], v[194:195], -v[94:95]
	v_mul_f64 v[94:95], v[186:187], v[90:91]
	v_mul_f64 v[90:91], v[176:177], v[90:91]
	v_fma_f64 v[14:15], v[14:15], 2.0, -v[16:17]
	v_fma_f64 v[8:9], v[8:9], 2.0, -v[22:23]
	v_add_f64 v[10:11], v[26:27], -v[10:11]
	v_fma_f64 v[94:95], v[88:89], v[176:177], v[94:95]
	v_fma_f64 v[88:89], v[88:89], v[186:187], -v[90:91]
	v_mul_f64 v[90:91], v[178:179], v[86:87]
	v_mul_f64 v[86:87], v[168:169], v[86:87]
	v_add_f64 v[142:143], v[112:113], v[10:11]
	s_delay_alu instid0(VALU_DEP_3) | instskip(NEXT) | instid1(VALU_DEP_3)
	v_fma_f64 v[90:91], v[84:85], v[168:169], v[90:91]
	v_fma_f64 v[84:85], v[84:85], v[178:179], -v[86:87]
	v_mul_f64 v[86:87], v[170:171], v[82:83]
	v_mul_f64 v[82:83], v[160:161], v[82:83]
	s_delay_alu instid0(VALU_DEP_2) | instskip(NEXT) | instid1(VALU_DEP_2)
	v_fma_f64 v[86:87], v[80:81], v[160:161], v[86:87]
	v_fma_f64 v[80:81], v[80:81], v[170:171], -v[82:83]
	v_mul_f64 v[82:83], v[162:163], v[78:79]
	v_mul_f64 v[78:79], v[152:153], v[78:79]
	s_delay_alu instid0(VALU_DEP_2) | instskip(NEXT) | instid1(VALU_DEP_2)
	;; [unrolled: 5-line block ×4, first 2 shown]
	v_fma_f64 v[74:75], v[68:69], v[136:137], v[74:75]
	v_fma_f64 v[68:69], v[68:69], v[146:147], -v[70:71]
	v_mul_f64 v[70:71], v[138:139], v[66:67]
	v_mul_f64 v[66:67], v[140:141], v[66:67]
	v_add_f64 v[136:137], v[116:117], -v[22:23]
	v_fma_f64 v[22:23], v[0:1], 2.0, -v[116:117]
	v_fma_f64 v[0:1], v[26:27], 2.0, -v[10:11]
	;; [unrolled: 1-line block ×3, first 2 shown]
	s_waitcnt vmcnt(0)
	v_fma_f64 v[128:129], v[124:125], v[34:35], -v[32:33]
	v_mul_f64 v[32:33], v[34:35], v[126:127]
	v_mul_f64 v[34:35], v[250:251], v[122:123]
	v_fma_f64 v[70:71], v[64:65], v[140:141], v[70:71]
	v_fma_f64 v[64:65], v[64:65], v[138:139], -v[66:67]
	v_add_f64 v[66:67], v[62:63], -v[180:181]
	v_add_f64 v[126:127], v[108:109], v[60:61]
	v_add_f64 v[138:139], v[114:115], v[20:21]
	v_fma_f64 v[20:21], v[2:3], 2.0, -v[112:113]
	v_fma_f64 v[2:3], v[28:29], 2.0, -v[18:19]
	;; [unrolled: 1-line block ×5, first 2 shown]
	v_fma_f64 v[124:125], v[124:125], v[248:249], v[32:33]
	v_mul_f64 v[32:33], v[240:241], v[122:123]
	v_fma_f64 v[34:35], v[120:121], v[240:241], v[34:35]
	v_add_f64 v[122:123], v[104:105], -v[106:107]
	v_fma_f64 v[18:19], v[62:63], 2.0, -v[66:67]
	v_fma_f64 v[62:63], v[174:175], 2.0, -v[118:119]
	v_add_f64 v[60:61], v[40:41], -v[60:61]
	v_fma_f64 v[32:33], v[120:121], v[250:251], -v[32:33]
	v_add_f64 v[120:121], v[66:67], -v[102:103]
	s_delay_alu instid0(VALU_DEP_1) | instskip(SKIP_1) | instid1(VALU_DEP_2)
	v_fma_f64 v[4:5], v[122:123], s[10:11], v[120:121]
	v_fma_f64 v[66:67], v[66:67], 2.0, -v[120:121]
	v_fma_f64 v[30:31], v[126:127], s[16:17], v[4:5]
	v_fma_f64 v[4:5], v[126:127], s[10:11], v[130:131]
	s_delay_alu instid0(VALU_DEP_1) | instskip(SKIP_1) | instid1(VALU_DEP_1)
	v_fma_f64 v[132:133], v[122:123], s[10:11], v[4:5]
	v_fma_f64 v[4:5], v[134:135], s[10:11], v[136:137]
	;; [unrolled: 1-line block ×4, first 2 shown]
	s_delay_alu instid0(VALU_DEP_1) | instskip(NEXT) | instid1(VALU_DEP_3)
	v_fma_f64 v[144:145], v[134:135], s[10:11], v[4:5]
	v_fma_f64 v[4:5], v[30:31], s[8:9], v[140:141]
	s_delay_alu instid0(VALU_DEP_1) | instskip(NEXT) | instid1(VALU_DEP_3)
	v_fma_f64 v[146:147], v[132:133], s[6:7], v[4:5]
	v_fma_f64 v[4:5], v[132:133], s[8:9], v[144:145]
	s_delay_alu instid0(VALU_DEP_1) | instskip(NEXT) | instid1(VALU_DEP_3)
	v_fma_f64 v[152:153], v[30:31], s[4:5], v[4:5]
	v_fma_f64 v[4:5], v[140:141], 2.0, -v[146:147]
	s_delay_alu instid0(VALU_DEP_2) | instskip(NEXT) | instid1(VALU_DEP_2)
	v_fma_f64 v[6:7], v[144:145], 2.0, -v[152:153]
	v_mul_f64 v[24:25], v[4:5], v[98:99]
	s_delay_alu instid0(VALU_DEP_2) | instskip(NEXT) | instid1(VALU_DEP_2)
	v_mul_f64 v[98:99], v[6:7], v[98:99]
	v_fma_f64 v[6:7], v[6:7], v[92:93], v[24:25]
	v_fma_f64 v[24:25], v[164:165], 2.0, -v[106:107]
	v_add_f64 v[106:107], v[20:21], -v[8:9]
	s_delay_alu instid0(VALU_DEP_4)
	v_fma_f64 v[4:5], v[4:5], v[92:93], -v[98:99]
	v_fma_f64 v[92:93], v[188:189], 2.0, -v[102:103]
	v_add_f64 v[98:99], v[18:19], -v[12:13]
	v_add_f64 v[12:13], v[26:27], -v[24:25]
	;; [unrolled: 1-line block ×4, first 2 shown]
	v_add_f64 v[156:157], v[106:107], v[16:17]
	v_add_f64 v[92:93], v[62:63], -v[92:93]
	v_add_f64 v[148:149], v[98:99], -v[12:13]
	v_fma_f64 v[12:13], v[26:27], 2.0, -v[12:13]
	v_add_f64 v[150:151], v[102:103], -v[24:25]
	v_fma_f64 v[16:17], v[28:29], 2.0, -v[24:25]
	v_fma_f64 v[26:27], v[106:107], 2.0, -v[156:157]
	v_add_f64 v[154:155], v[92:93], v[60:61]
	v_fma_f64 v[62:63], v[62:63], 2.0, -v[92:93]
	v_fma_f64 v[0:1], v[148:149], s[10:11], v[150:151]
	v_fma_f64 v[24:25], v[102:103], 2.0, -v[150:151]
	s_delay_alu instid0(VALU_DEP_3) | instskip(NEXT) | instid1(VALU_DEP_3)
	v_add_f64 v[160:161], v[62:63], -v[12:13]
	v_fma_f64 v[8:9], v[154:155], s[16:17], v[0:1]
	v_fma_f64 v[0:1], v[154:155], s[10:11], v[156:157]
	s_delay_alu instid0(VALU_DEP_1) | instskip(NEXT) | instid1(VALU_DEP_3)
	v_fma_f64 v[10:11], v[148:149], s[10:11], v[0:1]
	v_mul_f64 v[0:1], v[8:9], v[34:35]
	s_delay_alu instid0(VALU_DEP_2) | instskip(NEXT) | instid1(VALU_DEP_2)
	v_mul_f64 v[34:35], v[10:11], v[34:35]
	v_fma_f64 v[2:3], v[10:11], v[32:33], v[0:1]
	v_fma_f64 v[10:11], v[156:157], 2.0, -v[10:11]
	s_delay_alu instid0(VALU_DEP_3) | instskip(SKIP_1) | instid1(VALU_DEP_3)
	v_fma_f64 v[0:1], v[8:9], v[32:33], -v[34:35]
	v_fma_f64 v[8:9], v[150:151], 2.0, -v[8:9]
	v_mul_f64 v[34:35], v[10:11], v[94:95]
	s_delay_alu instid0(VALU_DEP_2) | instskip(NEXT) | instid1(VALU_DEP_2)
	v_mul_f64 v[32:33], v[8:9], v[94:95]
	v_fma_f64 v[8:9], v[8:9], v[88:89], -v[34:35]
	v_fma_f64 v[94:95], v[20:21], 2.0, -v[106:107]
	s_delay_alu instid0(VALU_DEP_3) | instskip(SKIP_4) | instid1(VALU_DEP_3)
	v_fma_f64 v[10:11], v[10:11], v[88:89], v[32:33]
	v_fma_f64 v[32:33], v[40:41], 2.0, -v[60:61]
	v_fma_f64 v[60:61], v[18:19], 2.0, -v[98:99]
	;; [unrolled: 1-line block ×3, first 2 shown]
	v_add_f64 v[164:165], v[94:95], -v[16:17]
	v_add_f64 v[158:159], v[60:61], -v[32:33]
	s_delay_alu instid0(VALU_DEP_3) | instskip(NEXT) | instid1(VALU_DEP_2)
	v_add_f64 v[162:163], v[88:89], -v[14:15]
	v_add_f64 v[18:19], v[164:165], v[158:159]
	s_delay_alu instid0(VALU_DEP_2) | instskip(NEXT) | instid1(VALU_DEP_2)
	v_add_f64 v[16:17], v[162:163], -v[160:161]
	v_mul_f64 v[20:21], v[18:19], v[44:45]
	s_delay_alu instid0(VALU_DEP_2) | instskip(NEXT) | instid1(VALU_DEP_1)
	v_mul_f64 v[12:13], v[16:17], v[44:45]
	v_fma_f64 v[14:15], v[18:19], v[42:43], v[12:13]
	s_delay_alu instid0(VALU_DEP_3) | instskip(SKIP_2) | instid1(VALU_DEP_2)
	v_fma_f64 v[12:13], v[16:17], v[42:43], -v[20:21]
	v_fma_f64 v[16:17], v[162:163], 2.0, -v[16:17]
	v_fma_f64 v[18:19], v[164:165], 2.0, -v[18:19]
	v_mul_f64 v[20:21], v[16:17], v[86:87]
	s_delay_alu instid0(VALU_DEP_2) | instskip(NEXT) | instid1(VALU_DEP_2)
	v_mul_f64 v[22:23], v[18:19], v[86:87]
	v_fma_f64 v[18:19], v[18:19], v[80:81], v[20:21]
	v_fma_f64 v[20:21], v[98:99], 2.0, -v[148:149]
	s_delay_alu instid0(VALU_DEP_3) | instskip(SKIP_1) | instid1(VALU_DEP_3)
	v_fma_f64 v[16:17], v[16:17], v[80:81], -v[22:23]
	v_fma_f64 v[22:23], v[92:93], 2.0, -v[154:155]
	v_fma_f64 v[28:29], v[20:21], s[16:17], v[24:25]
	s_delay_alu instid0(VALU_DEP_1) | instskip(SKIP_1) | instid1(VALU_DEP_2)
	v_fma_f64 v[28:29], v[22:23], s[16:17], v[28:29]
	v_fma_f64 v[22:23], v[22:23], s[16:17], v[26:27]
	v_fma_f64 v[24:25], v[24:25], 2.0, -v[28:29]
	s_delay_alu instid0(VALU_DEP_2) | instskip(SKIP_1) | instid1(VALU_DEP_2)
	v_fma_f64 v[32:33], v[20:21], s[10:11], v[22:23]
	v_mul_f64 v[20:21], v[28:29], v[52:53]
	v_mul_f64 v[34:35], v[32:33], v[52:53]
	v_fma_f64 v[26:27], v[26:27], 2.0, -v[32:33]
	s_delay_alu instid0(VALU_DEP_3) | instskip(SKIP_1) | instid1(VALU_DEP_4)
	v_fma_f64 v[22:23], v[32:33], v[50:51], v[20:21]
	v_fma_f64 v[52:53], v[112:113], 2.0, -v[142:143]
	v_fma_f64 v[20:21], v[28:29], v[50:51], -v[34:35]
	v_mul_f64 v[28:29], v[24:25], v[78:79]
	v_mul_f64 v[32:33], v[26:27], v[78:79]
	v_fma_f64 v[34:35], v[142:143], 2.0, -v[144:145]
	v_fma_f64 v[50:51], v[88:89], 2.0, -v[162:163]
	s_delay_alu instid0(VALU_DEP_4) | instskip(NEXT) | instid1(VALU_DEP_4)
	v_fma_f64 v[26:27], v[26:27], v[72:73], v[28:29]
	v_fma_f64 v[24:25], v[24:25], v[72:73], -v[32:33]
	v_fma_f64 v[28:29], v[120:121], 2.0, -v[30:31]
	v_fma_f64 v[32:33], v[136:137], 2.0, -v[140:141]
	;; [unrolled: 1-line block ×4, first 2 shown]
	s_delay_alu instid0(VALU_DEP_3) | instskip(NEXT) | instid1(VALU_DEP_1)
	v_fma_f64 v[40:41], v[28:29], s[6:7], v[32:33]
	v_fma_f64 v[40:41], v[30:31], s[20:21], v[40:41]
	;; [unrolled: 1-line block ×3, first 2 shown]
	s_delay_alu instid0(VALU_DEP_2) | instskip(NEXT) | instid1(VALU_DEP_2)
	v_fma_f64 v[32:33], v[32:33], 2.0, -v[40:41]
	v_fma_f64 v[42:43], v[28:29], s[8:9], v[30:31]
	v_mul_f64 v[28:29], v[40:41], v[48:49]
	s_delay_alu instid0(VALU_DEP_2) | instskip(NEXT) | instid1(VALU_DEP_2)
	v_mul_f64 v[44:45], v[42:43], v[48:49]
	v_fma_f64 v[30:31], v[42:43], v[46:47], v[28:29]
	v_fma_f64 v[34:35], v[34:35], 2.0, -v[42:43]
	s_delay_alu instid0(VALU_DEP_3) | instskip(SKIP_1) | instid1(VALU_DEP_3)
	v_fma_f64 v[28:29], v[40:41], v[46:47], -v[44:45]
	v_mul_f64 v[40:41], v[32:33], v[82:83]
	v_mul_f64 v[42:43], v[34:35], v[82:83]
	v_fma_f64 v[44:45], v[110:111], 2.0, -v[134:135]
	v_fma_f64 v[46:47], v[108:109], 2.0, -v[126:127]
	s_delay_alu instid0(VALU_DEP_4) | instskip(SKIP_4) | instid1(VALU_DEP_4)
	v_fma_f64 v[34:35], v[34:35], v[76:77], v[40:41]
	v_fma_f64 v[40:41], v[114:115], 2.0, -v[138:139]
	v_fma_f64 v[32:33], v[32:33], v[76:77], -v[42:43]
	v_fma_f64 v[42:43], v[104:105], 2.0, -v[122:123]
	v_fma_f64 v[76:77], v[118:119], 2.0, -v[130:131]
	v_fma_f64 v[48:49], v[40:41], s[16:17], v[52:53]
	s_delay_alu instid0(VALU_DEP_1) | instskip(SKIP_2) | instid1(VALU_DEP_2)
	v_fma_f64 v[78:79], v[44:45], s[10:11], v[48:49]
	v_fma_f64 v[44:45], v[44:45], s[16:17], v[72:73]
	v_fma_f64 v[48:49], v[94:95], 2.0, -v[164:165]
	v_fma_f64 v[80:81], v[40:41], s[16:17], v[44:45]
	v_fma_f64 v[40:41], v[42:43], s[16:17], v[66:67]
	s_delay_alu instid0(VALU_DEP_1) | instskip(SKIP_1) | instid1(VALU_DEP_1)
	v_fma_f64 v[82:83], v[46:47], s[16:17], v[40:41]
	v_fma_f64 v[40:41], v[46:47], s[16:17], v[76:77]
	;; [unrolled: 1-line block ×3, first 2 shown]
	s_delay_alu instid0(VALU_DEP_3) | instskip(NEXT) | instid1(VALU_DEP_2)
	v_fma_f64 v[40:41], v[82:83], s[4:5], v[80:81]
	v_fma_f64 v[42:43], v[86:87], s[4:5], v[78:79]
	s_delay_alu instid0(VALU_DEP_2) | instskip(NEXT) | instid1(VALU_DEP_2)
	v_fma_f64 v[40:41], v[86:87], s[20:21], v[40:41]
	v_fma_f64 v[42:43], v[82:83], s[8:9], v[42:43]
	s_delay_alu instid0(VALU_DEP_2) | instskip(NEXT) | instid1(VALU_DEP_2)
	v_mul_f64 v[44:45], v[40:41], v[38:39]
	v_mul_f64 v[46:47], v[42:43], v[38:39]
	s_delay_alu instid0(VALU_DEP_2) | instskip(SKIP_1) | instid1(VALU_DEP_3)
	v_fma_f64 v[38:39], v[42:43], v[36:37], v[44:45]
	v_fma_f64 v[42:43], v[78:79], 2.0, -v[42:43]
	v_fma_f64 v[36:37], v[40:41], v[36:37], -v[46:47]
	v_fma_f64 v[40:41], v[80:81], 2.0, -v[40:41]
	s_delay_alu instid0(VALU_DEP_3) | instskip(NEXT) | instid1(VALU_DEP_2)
	v_mul_f64 v[46:47], v[42:43], v[90:91]
	v_mul_f64 v[44:45], v[40:41], v[90:91]
	s_delay_alu instid0(VALU_DEP_2) | instskip(SKIP_1) | instid1(VALU_DEP_3)
	v_fma_f64 v[40:41], v[40:41], v[84:85], -v[46:47]
	v_fma_f64 v[46:47], v[62:63], 2.0, -v[160:161]
	v_fma_f64 v[42:43], v[42:43], v[84:85], v[44:45]
	v_fma_f64 v[44:45], v[60:61], 2.0, -v[158:159]
	s_delay_alu instid0(VALU_DEP_3) | instskip(NEXT) | instid1(VALU_DEP_2)
	v_add_f64 v[62:63], v[48:49], -v[46:47]
	v_add_f64 v[60:61], v[50:51], -v[44:45]
	s_delay_alu instid0(VALU_DEP_2) | instskip(SKIP_1) | instid1(VALU_DEP_3)
	v_mul_f64 v[84:85], v[62:63], v[96:97]
	v_fma_f64 v[48:49], v[48:49], 2.0, -v[62:63]
	v_mul_f64 v[44:45], v[60:61], v[96:97]
	s_delay_alu instid0(VALU_DEP_1) | instskip(NEXT) | instid1(VALU_DEP_4)
	v_fma_f64 v[46:47], v[62:63], v[100:101], v[44:45]
	v_fma_f64 v[44:45], v[60:61], v[100:101], -v[84:85]
	v_fma_f64 v[60:61], v[50:51], 2.0, -v[60:61]
	v_mul_f64 v[62:63], v[70:71], v[48:49]
	s_delay_alu instid0(VALU_DEP_2) | instskip(NEXT) | instid1(VALU_DEP_1)
	v_mul_f64 v[50:51], v[70:71], v[60:61]
	v_fma_f64 v[50:51], v[64:65], v[48:49], v[50:51]
	s_delay_alu instid0(VALU_DEP_3) | instskip(SKIP_4) | instid1(VALU_DEP_3)
	v_fma_f64 v[48:49], v[64:65], v[60:61], -v[62:63]
	v_fma_f64 v[60:61], v[66:67], 2.0, -v[82:83]
	v_fma_f64 v[62:63], v[72:73], 2.0, -v[80:81]
	v_fma_f64 v[64:65], v[52:53], 2.0, -v[78:79]
	v_fma_f64 v[52:53], v[76:77], 2.0, -v[86:87]
	v_fma_f64 v[66:67], v[60:61], s[20:21], v[62:63]
	s_delay_alu instid0(VALU_DEP_1) | instskip(NEXT) | instid1(VALU_DEP_4)
	v_fma_f64 v[66:67], v[52:53], s[6:7], v[66:67]
	v_fma_f64 v[52:53], v[52:53], s[20:21], v[64:65]
	s_delay_alu instid0(VALU_DEP_1) | instskip(NEXT) | instid1(VALU_DEP_3)
	v_fma_f64 v[60:61], v[60:61], s[4:5], v[52:53]
	v_mul_f64 v[52:53], v[66:67], v[54:55]
	s_delay_alu instid0(VALU_DEP_2) | instskip(NEXT) | instid1(VALU_DEP_2)
	v_mul_f64 v[70:71], v[60:61], v[54:55]
	v_fma_f64 v[54:55], v[60:61], v[56:57], v[52:53]
	v_fma_f64 v[60:61], v[64:65], 2.0, -v[60:61]
	s_delay_alu instid0(VALU_DEP_3)
	v_fma_f64 v[52:53], v[66:67], v[56:57], -v[70:71]
	ds_store_b128 v59, v[8:11] offset:1248
	ds_store_b128 v59, v[4:7] offset:1456
	;; [unrolled: 1-line block ×12, first 2 shown]
	scratch_load_b32 v4, off, off offset:8  ; 4-byte Folded Reload
	v_fma_f64 v[56:57], v[62:63], 2.0, -v[66:67]
	v_mul_f64 v[64:65], v[60:61], v[74:75]
	s_delay_alu instid0(VALU_DEP_2) | instskip(NEXT) | instid1(VALU_DEP_1)
	v_mul_f64 v[62:63], v[56:57], v[74:75]
	v_fma_f64 v[62:63], v[60:61], v[68:69], v[62:63]
	s_delay_alu instid0(VALU_DEP_3) | instskip(SKIP_2) | instid1(VALU_DEP_2)
	v_fma_f64 v[60:61], v[56:57], v[68:69], -v[64:65]
	v_mul_f64 v[56:57], v[146:147], v[124:125]
	v_mul_f64 v[64:65], v[152:153], v[124:125]
	v_fma_f64 v[66:67], v[152:153], v[128:129], v[56:57]
	s_delay_alu instid0(VALU_DEP_2)
	v_fma_f64 v[64:65], v[146:147], v[128:129], -v[64:65]
	s_waitcnt vmcnt(0)
	ds_store_b128 v4, v[48:51]
	ds_store_b128 v59, v[60:63] offset:208
	ds_store_b128 v59, v[0:3] offset:2912
	;; [unrolled: 1-line block ×3, first 2 shown]
.LBB0_20:
	s_or_b32 exec_lo, exec_lo, s18
	s_waitcnt lgkmcnt(0)
	s_waitcnt_vscnt null, 0x0
	s_barrier
	buffer_gl0_inv
	s_and_saveexec_b32 s4, s33
	s_cbranch_execz .LBB0_22
; %bb.21:
	s_clause 0x4
	scratch_load_b32 v8, off, off
	scratch_load_b32 v2, off, off offset:4
	scratch_load_b32 v18, off, off offset:64
	;; [unrolled: 1-line block ×4, first 2 shown]
	v_mad_u64_u32 v[6:7], null, s12, v58, 0
	s_lshl_b64 s[0:1], s[0:1], 4
	v_lshlrev_b32_e32 v1, 4, v58
	s_add_u32 s0, s2, s0
	s_addc_u32 s1, s3, s1
	s_waitcnt vmcnt(4)
	v_mad_u64_u32 v[4:5], null, s14, v8, 0
	s_waitcnt vmcnt(3)
	v_add3_u32 v31, 0, v2, v1
	v_mov_b32_e32 v1, v7
	s_waitcnt vmcnt(1)
	v_mad_u64_u32 v[13:14], null, s12, v19, 0
	s_delay_alu instid0(VALU_DEP_4) | instskip(NEXT) | instid1(VALU_DEP_1)
	v_dual_mov_b32 v0, v5 :: v_dual_add_nc_u32 v15, 16, v58
	v_mad_u64_u32 v[2:3], null, s15, v8, v[0:1]
	s_delay_alu instid0(VALU_DEP_1) | instskip(SKIP_1) | instid1(VALU_DEP_1)
	v_mad_u64_u32 v[10:11], null, s13, v58, v[1:2]
	v_mad_u64_u32 v[11:12], null, s12, v18, 0
	v_dual_mov_b32 v7, v10 :: v_dual_mov_b32 v10, v12
	v_mov_b32_e32 v12, v14
	v_mad_u64_u32 v[8:9], null, s12, v15, 0
	s_delay_alu instid0(VALU_DEP_3) | instskip(NEXT) | instid1(VALU_DEP_4)
	v_lshlrev_b64 v[6:7], 4, v[6:7]
	v_mad_u64_u32 v[16:17], null, s13, v18, v[10:11]
	v_mov_b32_e32 v5, v2
	ds_load_b128 v[0:3], v31
	v_mad_u64_u32 v[17:18], null, s13, v19, v[12:13]
	v_mov_b32_e32 v12, v16
	v_lshlrev_b64 v[4:5], 4, v[4:5]
	s_delay_alu instid0(VALU_DEP_2) | instskip(NEXT) | instid1(VALU_DEP_2)
	v_lshlrev_b64 v[19:20], 4, v[11:12]
	v_add_co_u32 v32, vcc_lo, s0, v4
	s_delay_alu instid0(VALU_DEP_3) | instskip(SKIP_1) | instid1(VALU_DEP_3)
	v_add_co_ci_u32_e32 v33, vcc_lo, s1, v5, vcc_lo
	v_mad_u64_u32 v[4:5], null, s13, v15, v[9:10]
	v_add_co_u32 v14, vcc_lo, v32, v6
	s_delay_alu instid0(VALU_DEP_3) | instskip(NEXT) | instid1(VALU_DEP_3)
	v_add_co_ci_u32_e32 v15, vcc_lo, v33, v7, vcc_lo
	v_mov_b32_e32 v9, v4
	ds_load_b128 v[4:7], v31 offset:256
	s_waitcnt lgkmcnt(1)
	global_store_b128 v[14:15], v[0:3], off
	v_mov_b32_e32 v14, v17
	s_waitcnt vmcnt(0)
	v_mad_u64_u32 v[15:16], null, s12, v25, 0
	v_lshlrev_b64 v[0:1], 4, v[8:9]
	s_delay_alu instid0(VALU_DEP_3) | instskip(NEXT) | instid1(VALU_DEP_3)
	v_lshlrev_b64 v[12:13], 4, v[13:14]
	v_mov_b32_e32 v14, v16
	s_delay_alu instid0(VALU_DEP_3) | instskip(NEXT) | instid1(VALU_DEP_4)
	v_add_co_u32 v17, vcc_lo, v32, v0
	v_add_co_ci_u32_e32 v18, vcc_lo, v33, v1, vcc_lo
	ds_load_b128 v[0:3], v31 offset:512
	ds_load_b128 v[8:11], v31 offset:768
	s_clause 0x1
	scratch_load_b32 v27, off, off offset:56
	scratch_load_b32 v26, off, off offset:52
	v_mad_u64_u32 v[23:24], null, s13, v25, v[14:15]
	v_add_co_u32 v19, vcc_lo, v32, v19
	v_add_co_ci_u32_e32 v20, vcc_lo, v33, v20, vcc_lo
	v_add_co_u32 v12, vcc_lo, v32, v12
	v_add_co_ci_u32_e32 v13, vcc_lo, v33, v13, vcc_lo
	s_waitcnt lgkmcnt(2)
	global_store_b128 v[17:18], v[4:7], off
	s_waitcnt lgkmcnt(1)
	global_store_b128 v[19:20], v[0:3], off
	;; [unrolled: 2-line block ×3, first 2 shown]
	scratch_load_b32 v12, off, off offset:48 ; 4-byte Folded Reload
	s_waitcnt vmcnt(2)
	v_mad_u64_u32 v[21:22], null, s12, v27, 0
	s_waitcnt vmcnt(1)
	v_mad_u64_u32 v[24:25], null, s12, v26, 0
	s_delay_alu instid0(VALU_DEP_2) | instskip(NEXT) | instid1(VALU_DEP_2)
	v_mov_b32_e32 v14, v22
	v_mov_b32_e32 v2, v25
	s_delay_alu instid0(VALU_DEP_1) | instskip(SKIP_1) | instid1(VALU_DEP_4)
	v_mad_u64_u32 v[8:9], null, s13, v26, v[2:3]
	v_mov_b32_e32 v16, v23
	v_mad_u64_u32 v[22:23], null, s13, v27, v[14:15]
	s_delay_alu instid0(VALU_DEP_3) | instskip(NEXT) | instid1(VALU_DEP_3)
	v_mov_b32_e32 v25, v8
	v_lshlrev_b64 v[0:1], 4, v[15:16]
	s_waitcnt vmcnt(0)
	v_mad_u64_u32 v[16:17], null, s12, v12, 0
	s_delay_alu instid0(VALU_DEP_4) | instskip(SKIP_1) | instid1(VALU_DEP_4)
	v_lshlrev_b64 v[10:11], 4, v[21:22]
	v_lshlrev_b64 v[23:24], 4, v[24:25]
	v_add_co_u32 v18, vcc_lo, v32, v0
	v_add_co_ci_u32_e32 v19, vcc_lo, v33, v1, vcc_lo
	ds_load_b128 v[0:3], v31 offset:1024
	ds_load_b128 v[4:7], v31 offset:1280
	scratch_load_b32 v30, off, off offset:44 ; 4-byte Folded Reload
	v_mov_b32_e32 v9, v17
	v_add_co_u32 v26, vcc_lo, v32, v10
	v_add_co_ci_u32_e32 v27, vcc_lo, v33, v11, vcc_lo
	s_delay_alu instid0(VALU_DEP_3)
	v_mad_u64_u32 v[20:21], null, s13, v12, v[9:10]
	ds_load_b128 v[8:11], v31 offset:1536
	ds_load_b128 v[12:15], v31 offset:1792
	v_add_co_u32 v23, vcc_lo, v32, v23
	v_add_co_ci_u32_e32 v24, vcc_lo, v33, v24, vcc_lo
	v_mov_b32_e32 v17, v20
	s_waitcnt lgkmcnt(3)
	global_store_b128 v[18:19], v[0:3], off
	v_lshlrev_b64 v[16:17], 4, v[16:17]
	s_delay_alu instid0(VALU_DEP_1) | instskip(NEXT) | instid1(VALU_DEP_2)
	v_add_co_u32 v16, vcc_lo, v32, v16
	v_add_co_ci_u32_e32 v17, vcc_lo, v33, v17, vcc_lo
	s_waitcnt vmcnt(0)
	v_mad_u64_u32 v[21:22], null, s12, v30, 0
	s_delay_alu instid0(VALU_DEP_1) | instskip(NEXT) | instid1(VALU_DEP_1)
	v_mov_b32_e32 v20, v22
	v_mad_u64_u32 v[28:29], null, s13, v30, v[20:21]
	scratch_load_b32 v20, off, off offset:40 ; 4-byte Folded Reload
	s_waitcnt lgkmcnt(2)
	global_store_b128 v[26:27], v[4:7], off
	s_waitcnt lgkmcnt(1)
	global_store_b128 v[23:24], v[8:11], off
	;; [unrolled: 2-line block ×3, first 2 shown]
	s_clause 0x2
	scratch_load_b32 v5, off, off offset:36
	scratch_load_b32 v17, off, off offset:32
	;; [unrolled: 1-line block ×3, first 2 shown]
	v_mov_b32_e32 v22, v28
	s_delay_alu instid0(VALU_DEP_1) | instskip(NEXT) | instid1(VALU_DEP_1)
	v_lshlrev_b64 v[1:2], 4, v[21:22]
	v_add_co_u32 v22, vcc_lo, v32, v1
	s_delay_alu instid0(VALU_DEP_2)
	v_add_co_ci_u32_e32 v23, vcc_lo, v33, v2, vcc_lo
	s_waitcnt vmcnt(3)
	v_mad_u64_u32 v[29:30], null, s12, v20, 0
	s_waitcnt vmcnt(2)
	v_mad_u64_u32 v[8:9], null, s12, v5, 0
	;; [unrolled: 2-line block ×3, first 2 shown]
	s_delay_alu instid0(VALU_DEP_1) | instskip(NEXT) | instid1(VALU_DEP_1)
	v_dual_mov_b32 v0, v30 :: v_dual_mov_b32 v13, v25
	v_mad_u64_u32 v[3:4], null, s13, v20, v[0:1]
	v_mad_u64_u32 v[20:21], null, s12, v17, 0
	v_mov_b32_e32 v0, v9
	s_delay_alu instid0(VALU_DEP_3) | instskip(NEXT) | instid1(VALU_DEP_2)
	v_mov_b32_e32 v30, v3
	v_mad_u64_u32 v[9:10], null, s13, v5, v[0:1]
	s_delay_alu instid0(VALU_DEP_4) | instskip(SKIP_4) | instid1(VALU_DEP_2)
	v_mov_b32_e32 v10, v21
	ds_load_b128 v[0:3], v31 offset:2048
	ds_load_b128 v[4:7], v31 offset:2304
	v_lshlrev_b64 v[11:12], 4, v[29:30]
	v_lshlrev_b64 v[28:29], 4, v[8:9]
	v_mad_u64_u32 v[14:15], null, s13, v17, v[10:11]
	s_delay_alu instid0(VALU_DEP_1)
	v_mov_b32_e32 v21, v14
	v_mad_u64_u32 v[25:26], null, s13, v16, v[13:14]
	v_add_co_u32 v26, vcc_lo, v32, v11
	v_add_co_ci_u32_e32 v27, vcc_lo, v33, v12, vcc_lo
	ds_load_b128 v[8:11], v31 offset:2560
	ds_load_b128 v[12:15], v31 offset:2816
	;; [unrolled: 1-line block ×3, first 2 shown]
	v_lshlrev_b64 v[20:21], 4, v[20:21]
	v_add_co_u32 v28, vcc_lo, v32, v28
	v_lshlrev_b64 v[24:25], 4, v[24:25]
	v_add_co_ci_u32_e32 v29, vcc_lo, v33, v29, vcc_lo
	s_delay_alu instid0(VALU_DEP_4) | instskip(SKIP_1) | instid1(VALU_DEP_4)
	v_add_co_u32 v20, vcc_lo, v32, v20
	v_add_co_ci_u32_e32 v21, vcc_lo, v33, v21, vcc_lo
	v_add_co_u32 v24, vcc_lo, v32, v24
	v_add_co_ci_u32_e32 v25, vcc_lo, v33, v25, vcc_lo
	s_waitcnt lgkmcnt(4)
	global_store_b128 v[22:23], v[0:3], off
	s_waitcnt lgkmcnt(3)
	global_store_b128 v[26:27], v[4:7], off
	;; [unrolled: 2-line block ×5, first 2 shown]
.LBB0_22:
	s_nop 0
	s_sendmsg sendmsg(MSG_DEALLOC_VGPRS)
	s_endpgm
	.section	.rodata,"a",@progbits
	.p2align	6, 0x0
	.amdhsa_kernel fft_rtc_fwd_len208_factors_13_16_wgs_144_tpt_16_dp_ip_CI_sbcc_twdbase5_3step
		.amdhsa_group_segment_fixed_size 0
		.amdhsa_private_segment_fixed_size 88
		.amdhsa_kernarg_size 96
		.amdhsa_user_sgpr_count 15
		.amdhsa_user_sgpr_dispatch_ptr 0
		.amdhsa_user_sgpr_queue_ptr 0
		.amdhsa_user_sgpr_kernarg_segment_ptr 1
		.amdhsa_user_sgpr_dispatch_id 0
		.amdhsa_user_sgpr_private_segment_size 0
		.amdhsa_wavefront_size32 1
		.amdhsa_uses_dynamic_stack 0
		.amdhsa_enable_private_segment 1
		.amdhsa_system_sgpr_workgroup_id_x 1
		.amdhsa_system_sgpr_workgroup_id_y 0
		.amdhsa_system_sgpr_workgroup_id_z 0
		.amdhsa_system_sgpr_workgroup_info 0
		.amdhsa_system_vgpr_workitem_id 0
		.amdhsa_next_free_vgpr 256
		.amdhsa_next_free_sgpr 46
		.amdhsa_reserve_vcc 1
		.amdhsa_float_round_mode_32 0
		.amdhsa_float_round_mode_16_64 0
		.amdhsa_float_denorm_mode_32 3
		.amdhsa_float_denorm_mode_16_64 3
		.amdhsa_dx10_clamp 1
		.amdhsa_ieee_mode 1
		.amdhsa_fp16_overflow 0
		.amdhsa_workgroup_processor_mode 1
		.amdhsa_memory_ordered 1
		.amdhsa_forward_progress 0
		.amdhsa_shared_vgpr_count 0
		.amdhsa_exception_fp_ieee_invalid_op 0
		.amdhsa_exception_fp_denorm_src 0
		.amdhsa_exception_fp_ieee_div_zero 0
		.amdhsa_exception_fp_ieee_overflow 0
		.amdhsa_exception_fp_ieee_underflow 0
		.amdhsa_exception_fp_ieee_inexact 0
		.amdhsa_exception_int_div_zero 0
	.end_amdhsa_kernel
	.text
.Lfunc_end0:
	.size	fft_rtc_fwd_len208_factors_13_16_wgs_144_tpt_16_dp_ip_CI_sbcc_twdbase5_3step, .Lfunc_end0-fft_rtc_fwd_len208_factors_13_16_wgs_144_tpt_16_dp_ip_CI_sbcc_twdbase5_3step
                                        ; -- End function
	.section	.AMDGPU.csdata,"",@progbits
; Kernel info:
; codeLenInByte = 13832
; NumSgprs: 48
; NumVgprs: 256
; ScratchSize: 88
; MemoryBound: 0
; FloatMode: 240
; IeeeMode: 1
; LDSByteSize: 0 bytes/workgroup (compile time only)
; SGPRBlocks: 5
; VGPRBlocks: 31
; NumSGPRsForWavesPerEU: 48
; NumVGPRsForWavesPerEU: 256
; Occupancy: 5
; WaveLimiterHint : 1
; COMPUTE_PGM_RSRC2:SCRATCH_EN: 1
; COMPUTE_PGM_RSRC2:USER_SGPR: 15
; COMPUTE_PGM_RSRC2:TRAP_HANDLER: 0
; COMPUTE_PGM_RSRC2:TGID_X_EN: 1
; COMPUTE_PGM_RSRC2:TGID_Y_EN: 0
; COMPUTE_PGM_RSRC2:TGID_Z_EN: 0
; COMPUTE_PGM_RSRC2:TIDIG_COMP_CNT: 0
	.text
	.p2alignl 7, 3214868480
	.fill 96, 4, 3214868480
	.type	__hip_cuid_587079871a734830,@object ; @__hip_cuid_587079871a734830
	.section	.bss,"aw",@nobits
	.globl	__hip_cuid_587079871a734830
__hip_cuid_587079871a734830:
	.byte	0                               ; 0x0
	.size	__hip_cuid_587079871a734830, 1

	.ident	"AMD clang version 19.0.0git (https://github.com/RadeonOpenCompute/llvm-project roc-6.4.0 25133 c7fe45cf4b819c5991fe208aaa96edf142730f1d)"
	.section	".note.GNU-stack","",@progbits
	.addrsig
	.addrsig_sym __hip_cuid_587079871a734830
	.amdgpu_metadata
---
amdhsa.kernels:
  - .args:
      - .actual_access:  read_only
        .address_space:  global
        .offset:         0
        .size:           8
        .value_kind:     global_buffer
      - .address_space:  global
        .offset:         8
        .size:           8
        .value_kind:     global_buffer
      - .offset:         16
        .size:           8
        .value_kind:     by_value
      - .actual_access:  read_only
        .address_space:  global
        .offset:         24
        .size:           8
        .value_kind:     global_buffer
      - .actual_access:  read_only
        .address_space:  global
        .offset:         32
        .size:           8
        .value_kind:     global_buffer
      - .offset:         40
        .size:           8
        .value_kind:     by_value
      - .actual_access:  read_only
        .address_space:  global
        .offset:         48
        .size:           8
        .value_kind:     global_buffer
      - .actual_access:  read_only
        .address_space:  global
        .offset:         56
        .size:           8
        .value_kind:     global_buffer
      - .offset:         64
        .size:           4
        .value_kind:     by_value
      - .actual_access:  read_only
        .address_space:  global
        .offset:         72
        .size:           8
        .value_kind:     global_buffer
      - .actual_access:  read_only
        .address_space:  global
        .offset:         80
        .size:           8
        .value_kind:     global_buffer
      - .address_space:  global
        .offset:         88
        .size:           8
        .value_kind:     global_buffer
    .group_segment_fixed_size: 0
    .kernarg_segment_align: 8
    .kernarg_segment_size: 96
    .language:       OpenCL C
    .language_version:
      - 2
      - 0
    .max_flat_workgroup_size: 144
    .name:           fft_rtc_fwd_len208_factors_13_16_wgs_144_tpt_16_dp_ip_CI_sbcc_twdbase5_3step
    .private_segment_fixed_size: 88
    .sgpr_count:     48
    .sgpr_spill_count: 0
    .symbol:         fft_rtc_fwd_len208_factors_13_16_wgs_144_tpt_16_dp_ip_CI_sbcc_twdbase5_3step.kd
    .uniform_work_group_size: 1
    .uses_dynamic_stack: false
    .vgpr_count:     256
    .vgpr_spill_count: 25
    .wavefront_size: 32
    .workgroup_processor_mode: 1
amdhsa.target:   amdgcn-amd-amdhsa--gfx1100
amdhsa.version:
  - 1
  - 2
...

	.end_amdgpu_metadata
